;; amdgpu-corpus repo=ROCm/rocFFT kind=compiled arch=gfx906 opt=O3
	.text
	.amdgcn_target "amdgcn-amd-amdhsa--gfx906"
	.amdhsa_code_object_version 6
	.protected	fft_rtc_fwd_len325_factors_13_5_5_wgs_52_tpt_13_sp_op_CI_CI_sbrr_dirReg ; -- Begin function fft_rtc_fwd_len325_factors_13_5_5_wgs_52_tpt_13_sp_op_CI_CI_sbrr_dirReg
	.globl	fft_rtc_fwd_len325_factors_13_5_5_wgs_52_tpt_13_sp_op_CI_CI_sbrr_dirReg
	.p2align	8
	.type	fft_rtc_fwd_len325_factors_13_5_5_wgs_52_tpt_13_sp_op_CI_CI_sbrr_dirReg,@function
fft_rtc_fwd_len325_factors_13_5_5_wgs_52_tpt_13_sp_op_CI_CI_sbrr_dirReg: ; @fft_rtc_fwd_len325_factors_13_5_5_wgs_52_tpt_13_sp_op_CI_CI_sbrr_dirReg
; %bb.0:
	s_load_dwordx4 s[16:19], s[4:5], 0x18
	s_load_dwordx4 s[12:15], s[4:5], 0x0
	;; [unrolled: 1-line block ×3, first 2 shown]
	v_mul_u32_u24_e32 v1, 0x13b2, v0
	v_lshrrev_b32_e32 v7, 16, v1
	s_waitcnt lgkmcnt(0)
	s_load_dwordx2 s[20:21], s[16:17], 0x0
	s_load_dwordx2 s[2:3], s[18:19], 0x0
	v_cmp_lt_u64_e64 s[0:1], s[14:15], 2
	v_mov_b32_e32 v3, 0
	v_mov_b32_e32 v1, 0
	v_lshl_add_u32 v5, s6, 2, v7
	v_mov_b32_e32 v6, v3
	s_and_b64 vcc, exec, s[0:1]
	v_mov_b32_e32 v2, 0
	s_cbranch_vccnz .LBB0_8
; %bb.1:
	s_load_dwordx2 s[0:1], s[4:5], 0x10
	s_add_u32 s6, s18, 8
	s_addc_u32 s7, s19, 0
	s_add_u32 s22, s16, 8
	v_mov_b32_e32 v1, 0
	s_addc_u32 s23, s17, 0
	v_mov_b32_e32 v2, 0
	s_waitcnt lgkmcnt(0)
	s_add_u32 s24, s0, 8
	v_mov_b32_e32 v49, v2
	s_addc_u32 s25, s1, 0
	s_mov_b64 s[26:27], 1
	v_mov_b32_e32 v48, v1
.LBB0_2:                                ; =>This Inner Loop Header: Depth=1
	s_load_dwordx2 s[28:29], s[24:25], 0x0
                                        ; implicit-def: $vgpr50_vgpr51
	s_waitcnt lgkmcnt(0)
	v_or_b32_e32 v4, s29, v6
	v_cmp_ne_u64_e32 vcc, 0, v[3:4]
	s_and_saveexec_b64 s[0:1], vcc
	s_xor_b64 s[30:31], exec, s[0:1]
	s_cbranch_execz .LBB0_4
; %bb.3:                                ;   in Loop: Header=BB0_2 Depth=1
	v_cvt_f32_u32_e32 v4, s28
	v_cvt_f32_u32_e32 v8, s29
	s_sub_u32 s0, 0, s28
	s_subb_u32 s1, 0, s29
	v_mac_f32_e32 v4, 0x4f800000, v8
	v_rcp_f32_e32 v4, v4
	v_mul_f32_e32 v4, 0x5f7ffffc, v4
	v_mul_f32_e32 v8, 0x2f800000, v4
	v_trunc_f32_e32 v8, v8
	v_mac_f32_e32 v4, 0xcf800000, v8
	v_cvt_u32_f32_e32 v8, v8
	v_cvt_u32_f32_e32 v4, v4
	v_mul_lo_u32 v9, s0, v8
	v_mul_hi_u32 v10, s0, v4
	v_mul_lo_u32 v12, s1, v4
	v_mul_lo_u32 v11, s0, v4
	v_add_u32_e32 v9, v10, v9
	v_add_u32_e32 v9, v9, v12
	v_mul_hi_u32 v10, v4, v11
	v_mul_lo_u32 v12, v4, v9
	v_mul_hi_u32 v14, v4, v9
	v_mul_hi_u32 v13, v8, v11
	v_mul_lo_u32 v11, v8, v11
	v_mul_hi_u32 v15, v8, v9
	v_add_co_u32_e32 v10, vcc, v10, v12
	v_addc_co_u32_e32 v12, vcc, 0, v14, vcc
	v_mul_lo_u32 v9, v8, v9
	v_add_co_u32_e32 v10, vcc, v10, v11
	v_addc_co_u32_e32 v10, vcc, v12, v13, vcc
	v_addc_co_u32_e32 v11, vcc, 0, v15, vcc
	v_add_co_u32_e32 v9, vcc, v10, v9
	v_addc_co_u32_e32 v10, vcc, 0, v11, vcc
	v_add_co_u32_e32 v4, vcc, v4, v9
	v_addc_co_u32_e32 v8, vcc, v8, v10, vcc
	v_mul_lo_u32 v9, s0, v8
	v_mul_hi_u32 v10, s0, v4
	v_mul_lo_u32 v11, s1, v4
	v_mul_lo_u32 v12, s0, v4
	v_add_u32_e32 v9, v10, v9
	v_add_u32_e32 v9, v9, v11
	v_mul_lo_u32 v13, v4, v9
	v_mul_hi_u32 v14, v4, v12
	v_mul_hi_u32 v15, v4, v9
	;; [unrolled: 1-line block ×3, first 2 shown]
	v_mul_lo_u32 v12, v8, v12
	v_mul_hi_u32 v10, v8, v9
	v_add_co_u32_e32 v13, vcc, v14, v13
	v_addc_co_u32_e32 v14, vcc, 0, v15, vcc
	v_mul_lo_u32 v9, v8, v9
	v_add_co_u32_e32 v12, vcc, v13, v12
	v_addc_co_u32_e32 v11, vcc, v14, v11, vcc
	v_addc_co_u32_e32 v10, vcc, 0, v10, vcc
	v_add_co_u32_e32 v9, vcc, v11, v9
	v_addc_co_u32_e32 v10, vcc, 0, v10, vcc
	v_add_co_u32_e32 v4, vcc, v4, v9
	v_addc_co_u32_e32 v10, vcc, v8, v10, vcc
	v_mad_u64_u32 v[8:9], s[0:1], v5, v10, 0
	v_mul_hi_u32 v11, v5, v4
	v_add_co_u32_e32 v12, vcc, v11, v8
	v_addc_co_u32_e32 v13, vcc, 0, v9, vcc
	v_mad_u64_u32 v[8:9], s[0:1], v6, v4, 0
	v_mad_u64_u32 v[10:11], s[0:1], v6, v10, 0
	v_add_co_u32_e32 v4, vcc, v12, v8
	v_addc_co_u32_e32 v4, vcc, v13, v9, vcc
	v_addc_co_u32_e32 v8, vcc, 0, v11, vcc
	v_add_co_u32_e32 v4, vcc, v4, v10
	v_addc_co_u32_e32 v10, vcc, 0, v8, vcc
	v_mul_lo_u32 v11, s29, v4
	v_mul_lo_u32 v12, s28, v10
	v_mad_u64_u32 v[8:9], s[0:1], s28, v4, 0
	v_add3_u32 v9, v9, v12, v11
	v_sub_u32_e32 v11, v6, v9
	v_mov_b32_e32 v12, s29
	v_sub_co_u32_e32 v8, vcc, v5, v8
	v_subb_co_u32_e64 v11, s[0:1], v11, v12, vcc
	v_subrev_co_u32_e64 v12, s[0:1], s28, v8
	v_subbrev_co_u32_e64 v11, s[0:1], 0, v11, s[0:1]
	v_cmp_le_u32_e64 s[0:1], s29, v11
	v_cndmask_b32_e64 v13, 0, -1, s[0:1]
	v_cmp_le_u32_e64 s[0:1], s28, v12
	v_cndmask_b32_e64 v12, 0, -1, s[0:1]
	v_cmp_eq_u32_e64 s[0:1], s29, v11
	v_cndmask_b32_e64 v11, v13, v12, s[0:1]
	v_add_co_u32_e64 v12, s[0:1], 2, v4
	v_addc_co_u32_e64 v13, s[0:1], 0, v10, s[0:1]
	v_add_co_u32_e64 v14, s[0:1], 1, v4
	v_addc_co_u32_e64 v15, s[0:1], 0, v10, s[0:1]
	v_subb_co_u32_e32 v9, vcc, v6, v9, vcc
	v_cmp_ne_u32_e64 s[0:1], 0, v11
	v_cmp_le_u32_e32 vcc, s29, v9
	v_cndmask_b32_e64 v11, v15, v13, s[0:1]
	v_cndmask_b32_e64 v13, 0, -1, vcc
	v_cmp_le_u32_e32 vcc, s28, v8
	v_cndmask_b32_e64 v8, 0, -1, vcc
	v_cmp_eq_u32_e32 vcc, s29, v9
	v_cndmask_b32_e32 v8, v13, v8, vcc
	v_cmp_ne_u32_e32 vcc, 0, v8
	v_cndmask_b32_e64 v8, v14, v12, s[0:1]
	v_cndmask_b32_e32 v51, v10, v11, vcc
	v_cndmask_b32_e32 v50, v4, v8, vcc
.LBB0_4:                                ;   in Loop: Header=BB0_2 Depth=1
	s_andn2_saveexec_b64 s[0:1], s[30:31]
	s_cbranch_execz .LBB0_6
; %bb.5:                                ;   in Loop: Header=BB0_2 Depth=1
	v_cvt_f32_u32_e32 v4, s28
	s_sub_i32 s30, 0, s28
	v_mov_b32_e32 v51, v3
	v_rcp_iflag_f32_e32 v4, v4
	v_mul_f32_e32 v4, 0x4f7ffffe, v4
	v_cvt_u32_f32_e32 v4, v4
	v_mul_lo_u32 v8, s30, v4
	v_mul_hi_u32 v8, v4, v8
	v_add_u32_e32 v4, v4, v8
	v_mul_hi_u32 v4, v5, v4
	v_mul_lo_u32 v8, v4, s28
	v_add_u32_e32 v9, 1, v4
	v_sub_u32_e32 v8, v5, v8
	v_subrev_u32_e32 v10, s28, v8
	v_cmp_le_u32_e32 vcc, s28, v8
	v_cndmask_b32_e32 v8, v8, v10, vcc
	v_cndmask_b32_e32 v4, v4, v9, vcc
	v_add_u32_e32 v9, 1, v4
	v_cmp_le_u32_e32 vcc, s28, v8
	v_cndmask_b32_e32 v50, v4, v9, vcc
.LBB0_6:                                ;   in Loop: Header=BB0_2 Depth=1
	s_or_b64 exec, exec, s[0:1]
	v_mul_lo_u32 v4, v51, s28
	v_mul_lo_u32 v10, v50, s29
	v_mad_u64_u32 v[8:9], s[0:1], v50, s28, 0
	s_load_dwordx2 s[0:1], s[22:23], 0x0
	s_load_dwordx2 s[28:29], s[6:7], 0x0
	v_add3_u32 v4, v9, v10, v4
	v_sub_co_u32_e32 v5, vcc, v5, v8
	v_subb_co_u32_e32 v4, vcc, v6, v4, vcc
	s_waitcnt lgkmcnt(0)
	v_mul_lo_u32 v6, s0, v4
	v_mul_lo_u32 v8, s1, v5
	v_mad_u64_u32 v[1:2], s[0:1], s0, v5, v[1:2]
	v_mul_lo_u32 v4, s28, v4
	v_mul_lo_u32 v9, s29, v5
	v_mad_u64_u32 v[48:49], s[0:1], s28, v5, v[48:49]
	s_add_u32 s26, s26, 1
	s_addc_u32 s27, s27, 0
	s_add_u32 s6, s6, 8
	v_add3_u32 v49, v9, v49, v4
	s_addc_u32 s7, s7, 0
	v_mov_b32_e32 v4, s14
	s_add_u32 s22, s22, 8
	v_mov_b32_e32 v5, s15
	s_addc_u32 s23, s23, 0
	v_cmp_ge_u64_e32 vcc, s[26:27], v[4:5]
	s_add_u32 s24, s24, 8
	v_add3_u32 v2, v8, v2, v6
	s_addc_u32 s25, s25, 0
	s_cbranch_vccnz .LBB0_9
; %bb.7:                                ;   in Loop: Header=BB0_2 Depth=1
	v_mov_b32_e32 v5, v50
	v_mov_b32_e32 v6, v51
	s_branch .LBB0_2
.LBB0_8:
	v_mov_b32_e32 v49, v2
	v_mov_b32_e32 v51, v6
	;; [unrolled: 1-line block ×4, first 2 shown]
.LBB0_9:
	s_load_dwordx2 s[0:1], s[4:5], 0x28
	s_lshl_b64 s[14:15], s[14:15], 3
	s_add_u32 s4, s18, s14
	s_addc_u32 s5, s19, s15
	v_and_b32_e32 v3, 3, v7
	s_waitcnt lgkmcnt(0)
	v_cmp_gt_u64_e32 vcc, s[0:1], v[50:51]
	v_cmp_le_u64_e64 s[0:1], s[0:1], v[50:51]
                                        ; implicit-def: $vgpr56
                                        ; implicit-def: $vgpr60
	s_and_saveexec_b64 s[6:7], s[0:1]
	s_xor_b64 s[0:1], exec, s[6:7]
; %bb.10:
	s_mov_b32 s6, 0x13b13b14
	v_mul_hi_u32 v1, v0, s6
	v_mul_u32_u24_e32 v1, 13, v1
	v_sub_u32_e32 v56, v0, v1
	v_add_u32_e32 v60, 13, v56
                                        ; implicit-def: $vgpr0
                                        ; implicit-def: $vgpr1_vgpr2
; %bb.11:
	s_or_saveexec_b64 s[6:7], s[0:1]
	v_mul_u32_u24_e32 v3, 0x145, v3
	v_lshlrev_b32_e32 v61, 3, v3
	s_xor_b64 exec, exec, s[6:7]
	s_cbranch_execz .LBB0_13
; %bb.12:
	s_add_u32 s0, s16, s14
	s_mov_b32 s14, 0x13b13b14
	v_mul_hi_u32 v3, v0, s14
	s_addc_u32 s1, s17, s15
	s_load_dwordx2 s[0:1], s[0:1], 0x0
	v_mul_u32_u24_e32 v3, 13, v3
	v_sub_u32_e32 v56, v0, v3
	v_mad_u64_u32 v[3:4], s[14:15], s20, v56, 0
	s_waitcnt lgkmcnt(0)
	v_mul_lo_u32 v9, s1, v50
	v_mul_lo_u32 v10, s0, v51
	v_mad_u64_u32 v[5:6], s[0:1], s0, v50, 0
	v_mov_b32_e32 v0, v4
	v_mad_u64_u32 v[7:8], s[0:1], s21, v56, v[0:1]
	v_add3_u32 v6, v6, v10, v9
	v_lshlrev_b64 v[5:6], 3, v[5:6]
	v_mov_b32_e32 v4, v7
	v_mov_b32_e32 v0, s9
	v_add_co_u32_e64 v7, s[0:1], s8, v5
	v_add_u32_e32 v60, 13, v56
	v_addc_co_u32_e64 v8, s[0:1], v0, v6, s[0:1]
	v_mad_u64_u32 v[5:6], s[0:1], s20, v60, 0
	v_lshlrev_b64 v[0:1], 3, v[1:2]
	v_add_u32_e32 v10, 39, v56
	v_add_co_u32_e64 v47, s[0:1], v7, v0
	v_mov_b32_e32 v2, v6
	v_addc_co_u32_e64 v59, s[0:1], v8, v1, s[0:1]
	v_lshlrev_b64 v[0:1], 3, v[3:4]
	v_mad_u64_u32 v[2:3], s[0:1], s21, v60, v[2:3]
	v_add_u32_e32 v7, 26, v56
	v_mad_u64_u32 v[3:4], s[0:1], s20, v7, 0
	v_add_co_u32_e64 v0, s[0:1], v47, v0
	v_mov_b32_e32 v6, v2
	v_mov_b32_e32 v2, v4
	v_addc_co_u32_e64 v1, s[0:1], v59, v1, s[0:1]
	v_mad_u64_u32 v[7:8], s[0:1], s21, v7, v[2:3]
	v_mad_u64_u32 v[8:9], s[0:1], s20, v10, 0
	v_lshlrev_b64 v[5:6], 3, v[5:6]
	v_mov_b32_e32 v4, v7
	v_add_co_u32_e64 v5, s[0:1], v47, v5
	v_lshlrev_b64 v[2:3], 3, v[3:4]
	v_mov_b32_e32 v4, v9
	v_addc_co_u32_e64 v6, s[0:1], v59, v6, s[0:1]
	v_mad_u64_u32 v[9:10], s[0:1], s21, v10, v[4:5]
	v_add_u32_e32 v12, 52, v56
	v_mad_u64_u32 v[10:11], s[0:1], s20, v12, 0
	v_add_co_u32_e64 v2, s[0:1], v47, v2
	v_mov_b32_e32 v4, v11
	v_addc_co_u32_e64 v3, s[0:1], v59, v3, s[0:1]
	v_mad_u64_u32 v[11:12], s[0:1], s21, v12, v[4:5]
	v_add_u32_e32 v14, 0x41, v56
	v_mad_u64_u32 v[12:13], s[0:1], s20, v14, 0
	v_lshlrev_b64 v[7:8], 3, v[8:9]
	v_lshlrev_b64 v[9:10], 3, v[10:11]
	v_add_co_u32_e64 v7, s[0:1], v47, v7
	v_mov_b32_e32 v4, v13
	v_addc_co_u32_e64 v8, s[0:1], v59, v8, s[0:1]
	v_mad_u64_u32 v[13:14], s[0:1], s21, v14, v[4:5]
	v_add_co_u32_e64 v9, s[0:1], v47, v9
	v_add_u32_e32 v15, 0x4e, v56
	v_addc_co_u32_e64 v10, s[0:1], v59, v10, s[0:1]
	v_lshlrev_b64 v[11:12], 3, v[12:13]
	v_mad_u64_u32 v[13:14], s[0:1], s20, v15, 0
	v_add_co_u32_e64 v11, s[0:1], v47, v11
	v_mov_b32_e32 v4, v14
	v_addc_co_u32_e64 v12, s[0:1], v59, v12, s[0:1]
	v_mad_u64_u32 v[14:15], s[0:1], s21, v15, v[4:5]
	v_add_u32_e32 v4, 0x5b, v56
	v_mad_u64_u32 v[15:16], s[0:1], s20, v4, 0
	global_load_dwordx2 v[17:18], v[0:1], off
	global_load_dwordx2 v[19:20], v[5:6], off
	;; [unrolled: 1-line block ×4, first 2 shown]
	v_lshlrev_b64 v[0:1], 3, v[13:14]
	v_mov_b32_e32 v2, v16
	v_mad_u64_u32 v[2:3], s[0:1], s21, v4, v[2:3]
	v_add_co_u32_e64 v0, s[0:1], v47, v0
	v_add_u32_e32 v6, 0x68, v56
	v_addc_co_u32_e64 v1, s[0:1], v59, v1, s[0:1]
	v_mov_b32_e32 v16, v2
	v_mad_u64_u32 v[4:5], s[0:1], s20, v6, 0
	v_lshlrev_b64 v[2:3], 3, v[15:16]
	v_add_u32_e32 v8, 0x75, v56
	v_add_co_u32_e64 v2, s[0:1], v47, v2
	v_addc_co_u32_e64 v3, s[0:1], v59, v3, s[0:1]
	v_mad_u64_u32 v[5:6], s[0:1], s21, v6, v[5:6]
	v_mad_u64_u32 v[6:7], s[0:1], s20, v8, 0
	global_load_dwordx2 v[13:14], v[9:10], off
	global_load_dwordx2 v[15:16], v[11:12], off
	;; [unrolled: 1-line block ×4, first 2 shown]
	v_lshlrev_b64 v[0:1], 3, v[4:5]
	v_mov_b32_e32 v2, v7
	v_mad_u64_u32 v[2:3], s[0:1], s21, v8, v[2:3]
	v_add_u32_e32 v8, 0x82, v56
	v_mad_u64_u32 v[3:4], s[0:1], s20, v8, 0
	v_add_co_u32_e64 v0, s[0:1], v47, v0
	v_mov_b32_e32 v7, v2
	v_mov_b32_e32 v2, v4
	v_addc_co_u32_e64 v1, s[0:1], v59, v1, s[0:1]
	v_lshlrev_b64 v[5:6], 3, v[6:7]
	v_mad_u64_u32 v[7:8], s[0:1], s21, v8, v[2:3]
	v_add_u32_e32 v10, 0x8f, v56
	v_mad_u64_u32 v[8:9], s[0:1], s20, v10, 0
	v_mov_b32_e32 v4, v7
	v_add_co_u32_e64 v5, s[0:1], v47, v5
	v_lshlrev_b64 v[2:3], 3, v[3:4]
	v_mov_b32_e32 v4, v9
	v_addc_co_u32_e64 v6, s[0:1], v59, v6, s[0:1]
	v_mad_u64_u32 v[9:10], s[0:1], s21, v10, v[4:5]
	v_add_co_u32_e64 v2, s[0:1], v47, v2
	v_add_u32_e32 v11, 0x9c, v56
	v_addc_co_u32_e64 v3, s[0:1], v59, v3, s[0:1]
	v_lshlrev_b64 v[7:8], 3, v[8:9]
	v_mad_u64_u32 v[9:10], s[0:1], s20, v11, 0
	v_add_co_u32_e64 v7, s[0:1], v47, v7
	v_mov_b32_e32 v4, v10
	v_addc_co_u32_e64 v8, s[0:1], v59, v8, s[0:1]
	v_mad_u64_u32 v[10:11], s[0:1], s21, v11, v[4:5]
	v_add_u32_e32 v4, 0xa9, v56
	v_mad_u64_u32 v[11:12], s[0:1], s20, v4, 0
	global_load_dwordx2 v[29:30], v[0:1], off
	global_load_dwordx2 v[31:32], v[5:6], off
	;; [unrolled: 1-line block ×4, first 2 shown]
	v_add_u32_e32 v7, 0xb6, v56
	v_mov_b32_e32 v2, v12
	v_mad_u64_u32 v[2:3], s[0:1], s21, v4, v[2:3]
	v_mad_u64_u32 v[3:4], s[0:1], s20, v7, 0
	v_lshlrev_b64 v[0:1], 3, v[9:10]
	v_mov_b32_e32 v12, v2
	v_add_co_u32_e64 v0, s[0:1], v47, v0
	v_mov_b32_e32 v2, v4
	v_addc_co_u32_e64 v1, s[0:1], v59, v1, s[0:1]
	v_mad_u64_u32 v[7:8], s[0:1], s21, v7, v[2:3]
	v_add_u32_e32 v10, 0xc3, v56
	v_mad_u64_u32 v[8:9], s[0:1], s20, v10, 0
	v_lshlrev_b64 v[5:6], 3, v[11:12]
	v_mov_b32_e32 v4, v7
	v_add_co_u32_e64 v5, s[0:1], v47, v5
	v_lshlrev_b64 v[2:3], 3, v[3:4]
	v_mov_b32_e32 v4, v9
	v_addc_co_u32_e64 v6, s[0:1], v59, v6, s[0:1]
	v_mad_u64_u32 v[9:10], s[0:1], s21, v10, v[4:5]
	v_or_b32_e32 v12, 0xd0, v56
	v_mad_u64_u32 v[10:11], s[0:1], s20, v12, 0
	v_add_co_u32_e64 v2, s[0:1], v47, v2
	v_mov_b32_e32 v4, v11
	v_addc_co_u32_e64 v3, s[0:1], v59, v3, s[0:1]
	v_mad_u64_u32 v[11:12], s[0:1], s21, v12, v[4:5]
	v_add_u32_e32 v12, 0xdd, v56
	v_mad_u64_u32 v[37:38], s[0:1], s20, v12, 0
	v_lshlrev_b64 v[7:8], 3, v[8:9]
	v_lshlrev_b64 v[9:10], 3, v[10:11]
	v_add_co_u32_e64 v7, s[0:1], v47, v7
	v_mov_b32_e32 v4, v38
	v_addc_co_u32_e64 v8, s[0:1], v59, v8, s[0:1]
	v_mad_u64_u32 v[11:12], s[0:1], s21, v12, v[4:5]
	v_add_co_u32_e64 v9, s[0:1], v47, v9
	v_mov_b32_e32 v38, v11
	v_add_u32_e32 v39, 0xea, v56
	v_addc_co_u32_e64 v10, s[0:1], v59, v10, s[0:1]
	v_lshlrev_b64 v[11:12], 3, v[37:38]
	v_mad_u64_u32 v[37:38], s[0:1], s20, v39, 0
	v_add_co_u32_e64 v11, s[0:1], v47, v11
	v_mov_b32_e32 v4, v38
	v_addc_co_u32_e64 v12, s[0:1], v59, v12, s[0:1]
	v_mad_u64_u32 v[38:39], s[0:1], s21, v39, v[4:5]
	v_add_u32_e32 v4, 0xf7, v56
	v_mad_u64_u32 v[39:40], s[0:1], s20, v4, 0
	global_load_dwordx2 v[41:42], v[0:1], off
	global_load_dwordx2 v[43:44], v[5:6], off
	global_load_dwordx2 v[45:46], v[2:3], off
	global_load_dwordx2 v[52:53], v[7:8], off
	v_lshlrev_b64 v[0:1], 3, v[37:38]
	v_mov_b32_e32 v2, v40
	v_mad_u64_u32 v[2:3], s[0:1], s21, v4, v[2:3]
	v_add_co_u32_e64 v0, s[0:1], v47, v0
	v_add_u32_e32 v6, 0x104, v56
	v_addc_co_u32_e64 v1, s[0:1], v59, v1, s[0:1]
	v_mov_b32_e32 v40, v2
	v_mad_u64_u32 v[4:5], s[0:1], s20, v6, 0
	v_lshlrev_b64 v[2:3], 3, v[39:40]
	v_add_u32_e32 v8, 0x111, v56
	v_add_co_u32_e64 v2, s[0:1], v47, v2
	v_addc_co_u32_e64 v3, s[0:1], v59, v3, s[0:1]
	v_mad_u64_u32 v[5:6], s[0:1], s21, v6, v[5:6]
	v_mad_u64_u32 v[6:7], s[0:1], s20, v8, 0
	global_load_dwordx2 v[37:38], v[9:10], off
	global_load_dwordx2 v[39:40], v[11:12], off
	;; [unrolled: 1-line block ×4, first 2 shown]
	v_lshlrev_b64 v[0:1], 3, v[4:5]
	v_mov_b32_e32 v2, v7
	v_mad_u64_u32 v[2:3], s[0:1], s21, v8, v[2:3]
	v_add_u32_e32 v8, 0x11e, v56
	v_mad_u64_u32 v[3:4], s[0:1], s20, v8, 0
	v_add_co_u32_e64 v0, s[0:1], v47, v0
	v_mov_b32_e32 v7, v2
	v_mov_b32_e32 v2, v4
	v_addc_co_u32_e64 v1, s[0:1], v59, v1, s[0:1]
	v_lshlrev_b64 v[5:6], 3, v[6:7]
	v_mad_u64_u32 v[7:8], s[0:1], s21, v8, v[2:3]
	v_add_u32_e32 v10, 0x12b, v56
	v_mad_u64_u32 v[8:9], s[0:1], s20, v10, 0
	v_mov_b32_e32 v4, v7
	v_add_co_u32_e64 v5, s[0:1], v47, v5
	v_lshlrev_b64 v[2:3], 3, v[3:4]
	v_mov_b32_e32 v4, v9
	v_addc_co_u32_e64 v6, s[0:1], v59, v6, s[0:1]
	v_mad_u64_u32 v[9:10], s[0:1], s21, v10, v[4:5]
	v_add_u32_e32 v12, 0x138, v56
	v_mad_u64_u32 v[10:11], s[0:1], s20, v12, 0
	v_add_co_u32_e64 v2, s[0:1], v47, v2
	v_mov_b32_e32 v4, v11
	v_addc_co_u32_e64 v3, s[0:1], v59, v3, s[0:1]
	v_mad_u64_u32 v[11:12], s[0:1], s21, v12, v[4:5]
	v_lshlrev_b64 v[7:8], 3, v[8:9]
	v_add_co_u32_e64 v7, s[0:1], v47, v7
	v_lshlrev_b64 v[9:10], 3, v[10:11]
	v_addc_co_u32_e64 v8, s[0:1], v59, v8, s[0:1]
	v_add_co_u32_e64 v9, s[0:1], v47, v9
	v_addc_co_u32_e64 v10, s[0:1], v59, v10, s[0:1]
	global_load_dwordx2 v[11:12], v[0:1], off
	global_load_dwordx2 v[62:63], v[5:6], off
	global_load_dwordx2 v[64:65], v[2:3], off
	global_load_dwordx2 v[66:67], v[7:8], off
	global_load_dwordx2 v[68:69], v[9:10], off
	v_lshlrev_b32_e32 v0, 3, v56
	v_add3_u32 v0, 0, v61, v0
	v_add_u32_e32 v1, 0x800, v0
	s_waitcnt vmcnt(23)
	ds_write2_b64 v0, v[17:18], v[19:20] offset1:13
	s_waitcnt vmcnt(21)
	ds_write2_b64 v0, v[21:22], v[23:24] offset0:26 offset1:39
	s_waitcnt vmcnt(19)
	ds_write2_b64 v0, v[13:14], v[15:16] offset0:52 offset1:65
	;; [unrolled: 2-line block ×11, first 2 shown]
	s_waitcnt vmcnt(0)
	ds_write_b64 v0, v[68:69] offset:2496
.LBB0_13:
	s_or_b64 exec, exec, s[6:7]
	v_add_u32_e32 v57, 0, v61
	v_lshlrev_b32_e32 v0, 3, v56
	v_add_u32_e32 v62, v57, v0
	v_add_u32_e32 v0, 0, v0
	;; [unrolled: 1-line block ×3, first 2 shown]
	s_load_dwordx2 s[4:5], s[4:5], 0x0
	s_waitcnt lgkmcnt(0)
	; wave barrier
	s_waitcnt lgkmcnt(0)
	ds_read2_b64 v[0:3], v58 offset0:13 offset1:25
	ds_read2_b64 v[44:47], v58 offset0:38 offset1:50
	;; [unrolled: 1-line block ×10, first 2 shown]
	ds_read_b64 v[63:64], v62
	v_add_u32_e32 v59, 0x800, v58
	ds_read2_b64 v[12:15], v59 offset0:7 offset1:19
	ds_read2_b64 v[16:19], v59 offset0:32 offset1:44
	ds_read_b64 v[52:53], v58 offset:2504
	s_mov_b32 s8, 0x3f62ad3f
	s_mov_b32 s9, 0x3f116cb1
	s_waitcnt lgkmcnt(3)
	v_add_f32_e32 v54, v63, v2
	v_add_f32_e32 v55, v64, v3
	;; [unrolled: 1-line block ×17, first 2 shown]
	s_waitcnt lgkmcnt(1)
	v_add_f32_e32 v65, v18, v2
	v_sub_f32_e32 v2, v2, v18
	v_add_f32_e32 v55, v55, v7
	v_add_f32_e32 v54, v54, v10
	v_mul_f32_e32 v67, 0xbeedf032, v2
	v_mul_f32_e32 v71, 0xbf52af12, v2
	;; [unrolled: 1-line block ×6, first 2 shown]
	v_add_f32_e32 v55, v55, v11
	v_add_f32_e32 v54, v54, v14
	;; [unrolled: 1-line block ×3, first 2 shown]
	v_sub_f32_e32 v3, v3, v19
	v_mov_b32_e32 v68, v67
	v_mov_b32_e32 v72, v71
	s_mov_b32 s14, 0x3df6dbef
	v_mov_b32_e32 v76, v75
	s_mov_b32 s15, 0xbeb58ec6
	;; [unrolled: 2-line block ×4, first 2 shown]
	v_mov_b32_e32 v86, v2
	v_add_f32_e32 v55, v55, v15
	v_add_f32_e32 v54, v54, v18
	v_mul_f32_e32 v18, 0xbeedf032, v3
	v_fmac_f32_e32 v68, 0x3f62ad3f, v66
	v_fma_f32 v67, v66, s8, -v67
	v_mul_f32_e32 v69, 0xbf52af12, v3
	v_fmac_f32_e32 v72, 0x3f116cb1, v66
	v_fma_f32 v71, v66, s9, -v71
	;; [unrolled: 3-line block ×6, first 2 shown]
	v_add_f32_e32 v55, v55, v19
	v_fma_f32 v19, v65, s8, -v18
	v_add_f32_e32 v68, v64, v68
	v_fmac_f32_e32 v18, 0x3f62ad3f, v65
	v_add_f32_e32 v67, v64, v67
	v_fma_f32 v70, v65, s9, -v69
	v_add_f32_e32 v72, v64, v72
	v_fmac_f32_e32 v69, 0x3f116cb1, v65
	;; [unrolled: 4-line block ×6, first 2 shown]
	v_add_f32_e32 v2, v64, v2
	v_add_f32_e32 v64, v15, v47
	v_sub_f32_e32 v15, v47, v15
	v_add_f32_e32 v19, v63, v19
	v_add_f32_e32 v18, v63, v18
	;; [unrolled: 1-line block ×13, first 2 shown]
	v_sub_f32_e32 v14, v46, v14
	v_mul_f32_e32 v46, 0xbf52af12, v15
	v_fma_f32 v47, v63, s9, -v46
	v_add_f32_e32 v19, v47, v19
	v_mul_f32_e32 v47, 0xbf52af12, v14
	v_fmac_f32_e32 v46, 0x3f116cb1, v63
	v_mov_b32_e32 v65, v47
	v_add_f32_e32 v18, v46, v18
	v_fma_f32 v46, v64, s9, -v47
	v_mul_f32_e32 v47, 0xbf6f5d39, v15
	v_fma_f32 v66, v63, s15, -v47
	v_fmac_f32_e32 v47, 0xbeb58ec6, v63
	v_fmac_f32_e32 v65, 0x3f116cb1, v64
	v_add_f32_e32 v46, v46, v67
	v_mul_f32_e32 v67, 0xbf6f5d39, v14
	v_add_f32_e32 v47, v47, v69
	v_mul_f32_e32 v69, 0xbe750f2a, v15
	v_add_f32_e32 v65, v65, v68
	v_add_f32_e32 v66, v66, v70
	v_mov_b32_e32 v68, v67
	v_fma_f32 v67, v64, s15, -v67
	v_fma_f32 v70, v63, s17, -v69
	v_fmac_f32_e32 v69, 0xbf788fa5, v63
	v_fmac_f32_e32 v68, 0xbeb58ec6, v64
	v_add_f32_e32 v67, v67, v71
	v_mul_f32_e32 v71, 0xbe750f2a, v14
	v_add_f32_e32 v69, v69, v73
	v_mul_f32_e32 v73, 0x3f29c268, v15
	v_add_f32_e32 v68, v68, v72
	v_add_f32_e32 v70, v70, v74
	v_mov_b32_e32 v72, v71
	v_fma_f32 v71, v64, s17, -v71
	;; [unrolled: 11-line block ×3, first 2 shown]
	v_fma_f32 v78, v63, s14, -v77
	v_fmac_f32_e32 v77, 0x3df6dbef, v63
	v_mul_f32_e32 v15, 0x3eedf032, v15
	v_add_f32_e32 v75, v75, v79
	v_mul_f32_e32 v79, 0x3f7e222b, v14
	v_add_f32_e32 v77, v77, v81
	v_fma_f32 v81, v63, s8, -v15
	v_mul_f32_e32 v14, 0x3eedf032, v14
	v_fmac_f32_e32 v15, 0x3f62ad3f, v63
	v_add_f32_e32 v78, v78, v82
	v_mov_b32_e32 v82, v14
	v_add_f32_e32 v3, v15, v3
	v_fma_f32 v14, v64, s8, -v14
	v_add_f32_e32 v15, v11, v43
	v_sub_f32_e32 v11, v43, v11
	v_add_f32_e32 v2, v14, v2
	v_add_f32_e32 v14, v10, v42
	v_sub_f32_e32 v10, v42, v10
	v_mul_f32_e32 v42, 0xbf7e222b, v11
	v_fma_f32 v43, v14, s14, -v42
	v_fmac_f32_e32 v76, 0xbf3f9e67, v64
	v_add_f32_e32 v19, v43, v19
	v_mul_f32_e32 v43, 0xbf7e222b, v10
	v_fmac_f32_e32 v42, 0x3df6dbef, v14
	v_add_f32_e32 v76, v76, v80
	v_mov_b32_e32 v80, v79
	v_mov_b32_e32 v63, v43
	v_add_f32_e32 v18, v42, v18
	v_fma_f32 v42, v15, s14, -v43
	v_mul_f32_e32 v43, 0xbe750f2a, v11
	v_fmac_f32_e32 v80, 0x3df6dbef, v64
	v_fma_f32 v79, v64, s14, -v79
	v_fmac_f32_e32 v82, 0x3f62ad3f, v64
	v_fmac_f32_e32 v63, 0x3df6dbef, v15
	v_add_f32_e32 v42, v42, v46
	v_fma_f32 v46, v14, s17, -v43
	v_mul_f32_e32 v64, 0xbe750f2a, v10
	v_fmac_f32_e32 v43, 0xbf788fa5, v14
	v_add_f32_e32 v63, v63, v65
	v_mov_b32_e32 v65, v64
	v_add_f32_e32 v43, v43, v47
	v_fma_f32 v47, v15, s17, -v64
	v_mul_f32_e32 v64, 0x3f6f5d39, v11
	v_add_f32_e32 v46, v46, v66
	v_fma_f32 v66, v14, s15, -v64
	v_fmac_f32_e32 v64, 0xbeb58ec6, v14
	v_fmac_f32_e32 v65, 0xbf788fa5, v15
	v_add_f32_e32 v47, v47, v67
	v_mul_f32_e32 v67, 0x3f6f5d39, v10
	v_add_f32_e32 v64, v64, v69
	v_mul_f32_e32 v69, 0x3eedf032, v11
	v_add_f32_e32 v65, v65, v68
	v_add_f32_e32 v66, v66, v70
	v_mov_b32_e32 v68, v67
	v_fma_f32 v67, v15, s15, -v67
	v_fma_f32 v70, v14, s8, -v69
	v_fmac_f32_e32 v69, 0x3f62ad3f, v14
	v_fmac_f32_e32 v68, 0xbeb58ec6, v15
	v_add_f32_e32 v67, v67, v71
	v_mul_f32_e32 v71, 0x3eedf032, v10
	v_add_f32_e32 v69, v69, v73
	v_mul_f32_e32 v73, 0xbf52af12, v11
	v_add_f32_e32 v68, v68, v72
	v_add_f32_e32 v70, v70, v74
	v_mov_b32_e32 v72, v71
	v_fma_f32 v71, v15, s8, -v71
	v_fma_f32 v74, v14, s9, -v73
	v_fmac_f32_e32 v73, 0x3f116cb1, v14
	v_mul_f32_e32 v11, 0xbf29c268, v11
	v_add_f32_e32 v71, v71, v75
	v_mul_f32_e32 v75, 0xbf52af12, v10
	v_add_f32_e32 v73, v73, v77
	v_fma_f32 v77, v14, s16, -v11
	v_mul_f32_e32 v10, 0xbf29c268, v10
	v_fmac_f32_e32 v11, 0xbf3f9e67, v14
	v_fmac_f32_e32 v72, 0x3f62ad3f, v15
	v_add_f32_e32 v74, v74, v78
	v_mov_b32_e32 v78, v10
	v_add_f32_e32 v3, v11, v3
	v_fma_f32 v10, v15, s16, -v10
	v_add_f32_e32 v11, v7, v39
	v_sub_f32_e32 v7, v39, v7
	v_add_f32_e32 v72, v72, v76
	v_mov_b32_e32 v76, v75
	v_add_f32_e32 v2, v10, v2
	v_add_f32_e32 v10, v6, v38
	v_mul_f32_e32 v14, 0xbf6f5d39, v7
	v_fmac_f32_e32 v76, 0x3f116cb1, v15
	v_fma_f32 v75, v15, s9, -v75
	v_fmac_f32_e32 v78, 0xbf3f9e67, v15
	v_sub_f32_e32 v6, v38, v6
	v_fma_f32 v15, v10, s15, -v14
	v_add_f32_e32 v15, v15, v19
	v_mul_f32_e32 v19, 0xbf6f5d39, v6
	v_fmac_f32_e32 v14, 0xbeb58ec6, v10
	v_mov_b32_e32 v38, v19
	v_add_f32_e32 v14, v14, v18
	v_fma_f32 v18, v11, s15, -v19
	v_mul_f32_e32 v19, 0x3f29c268, v7
	v_add_f32_e32 v18, v18, v42
	v_fma_f32 v39, v10, s16, -v19
	v_mul_f32_e32 v42, 0x3f29c268, v6
	v_fmac_f32_e32 v19, 0xbf3f9e67, v10
	v_fmac_f32_e32 v38, 0xbeb58ec6, v11
	v_add_f32_e32 v39, v39, v46
	v_mov_b32_e32 v46, v42
	v_add_f32_e32 v19, v19, v43
	v_fma_f32 v42, v11, s16, -v42
	v_mul_f32_e32 v43, 0x3eedf032, v7
	v_add_f32_e32 v38, v38, v63
	v_fmac_f32_e32 v46, 0xbf3f9e67, v11
	v_add_f32_e32 v42, v42, v47
	v_fma_f32 v47, v10, s8, -v43
	v_mul_f32_e32 v63, 0x3eedf032, v6
	v_fmac_f32_e32 v43, 0x3f62ad3f, v10
	v_add_f32_e32 v46, v46, v65
	v_mov_b32_e32 v65, v63
	v_add_f32_e32 v43, v43, v64
	v_fma_f32 v63, v11, s8, -v63
	v_mul_f32_e32 v64, 0xbf7e222b, v7
	v_add_f32_e32 v47, v47, v66
	v_fmac_f32_e32 v65, 0x3f62ad3f, v11
	v_add_f32_e32 v63, v63, v67
	v_fma_f32 v66, v10, s14, -v64
	v_mul_f32_e32 v67, 0xbf7e222b, v6
	;; [unrolled: 11-line block ×3, first 2 shown]
	v_mul_f32_e32 v6, 0x3f52af12, v6
	v_add_f32_e32 v68, v68, v72
	v_add_f32_e32 v70, v70, v74
	v_mov_b32_e32 v72, v71
	v_mov_b32_e32 v74, v6
	v_fmac_f32_e32 v72, 0xbf788fa5, v11
	v_fmac_f32_e32 v69, 0xbf788fa5, v10
	v_fma_f32 v71, v11, s17, -v71
	v_mul_f32_e32 v7, 0x3f52af12, v7
	v_fmac_f32_e32 v74, 0x3f116cb1, v11
	v_fma_f32 v6, v11, s9, -v6
	v_sub_f32_e32 v11, v35, v23
	v_add_f32_e32 v69, v69, v73
	v_fma_f32 v73, v10, s9, -v7
	v_fmac_f32_e32 v7, 0x3f116cb1, v10
	v_add_f32_e32 v2, v6, v2
	v_add_f32_e32 v6, v22, v34
	v_sub_f32_e32 v10, v34, v22
	v_mul_f32_e32 v22, 0xbf29c268, v11
	v_add_f32_e32 v3, v7, v3
	v_add_f32_e32 v7, v23, v35
	v_fma_f32 v23, v6, s16, -v22
	v_add_f32_e32 v15, v23, v15
	v_mul_f32_e32 v23, 0xbf29c268, v10
	v_fmac_f32_e32 v22, 0xbf3f9e67, v6
	v_add_f32_e32 v14, v22, v14
	v_fma_f32 v22, v7, s16, -v23
	v_mov_b32_e32 v34, v23
	v_add_f32_e32 v18, v22, v18
	v_mul_f32_e32 v22, 0x3f7e222b, v11
	v_fmac_f32_e32 v34, 0xbf3f9e67, v7
	v_fma_f32 v23, v6, s14, -v22
	v_mul_f32_e32 v35, 0x3f7e222b, v10
	v_fmac_f32_e32 v22, 0x3df6dbef, v6
	v_add_f32_e32 v34, v34, v38
	v_mov_b32_e32 v38, v35
	v_add_f32_e32 v19, v22, v19
	v_fma_f32 v22, v7, s14, -v35
	v_add_f32_e32 v79, v79, v83
	v_fmac_f32_e32 v38, 0x3df6dbef, v7
	v_add_f32_e32 v22, v22, v42
	v_mul_f32_e32 v42, 0xbf52af12, v10
	v_add_f32_e32 v75, v75, v79
	v_add_f32_e32 v38, v38, v46
	v_mul_f32_e32 v35, 0xbf52af12, v11
	v_mov_b32_e32 v46, v42
	v_fma_f32 v42, v7, s9, -v42
	v_add_f32_e32 v71, v71, v75
	v_add_f32_e32 v23, v23, v39
	v_fma_f32 v39, v6, s9, -v35
	v_fmac_f32_e32 v35, 0x3f116cb1, v6
	v_add_f32_e32 v75, v42, v63
	v_mul_f32_e32 v42, 0x3e750f2a, v11
	v_add_f32_e32 v80, v80, v84
	v_add_f32_e32 v35, v35, v43
	v_fma_f32 v43, v6, s17, -v42
	v_add_f32_e32 v76, v76, v80
	v_add_f32_e32 v66, v43, v66
	v_mul_f32_e32 v43, 0x3e750f2a, v10
	v_fmac_f32_e32 v42, 0xbf788fa5, v6
	v_add_f32_e32 v72, v72, v76
	v_add_f32_e32 v76, v42, v64
	v_fma_f32 v42, v7, s17, -v43
	v_fmac_f32_e32 v46, 0x3f116cb1, v7
	v_add_f32_e32 v67, v42, v67
	v_mul_f32_e32 v42, 0x3eedf032, v11
	v_add_f32_e32 v65, v46, v65
	v_mov_b32_e32 v46, v43
	v_fma_f32 v43, v6, s8, -v42
	v_add_f32_e32 v70, v43, v70
	v_mul_f32_e32 v43, 0x3eedf032, v10
	v_fmac_f32_e32 v42, 0x3f62ad3f, v6
	v_add_f32_e32 v81, v81, v85
	v_add_f32_e32 v69, v42, v69
	v_fma_f32 v42, v7, s8, -v43
	v_mul_f32_e32 v11, 0xbf6f5d39, v11
	v_add_f32_e32 v82, v82, v86
	v_add_f32_e32 v77, v77, v81
	;; [unrolled: 1-line block ×3, first 2 shown]
	v_fma_f32 v42, v6, s15, -v11
	v_mul_f32_e32 v10, 0xbf6f5d39, v10
	v_fmac_f32_e32 v11, 0xbeb58ec6, v6
	v_add_f32_e32 v78, v78, v82
	v_add_f32_e32 v73, v73, v77
	;; [unrolled: 1-line block ×3, first 2 shown]
	v_fma_f32 v3, v7, s15, -v10
	v_add_f32_e32 v80, v27, v31
	v_sub_f32_e32 v27, v31, v27
	v_add_f32_e32 v74, v74, v78
	v_add_f32_e32 v73, v42, v73
	v_mov_b32_e32 v42, v10
	v_add_f32_e32 v78, v3, v2
	v_add_f32_e32 v79, v26, v30
	v_mul_f32_e32 v2, 0xbe750f2a, v27
	v_fmac_f32_e32 v42, 0xbeb58ec6, v7
	v_sub_f32_e32 v26, v30, v26
	v_fma_f32 v3, v79, s17, -v2
	v_add_f32_e32 v74, v42, v74
	v_add_f32_e32 v42, v3, v15
	v_mul_f32_e32 v3, 0xbe750f2a, v26
	v_mov_b32_e32 v6, v3
	v_fmac_f32_e32 v46, 0xbf788fa5, v7
	v_fmac_f32_e32 v6, 0xbf788fa5, v80
	v_add_f32_e32 v68, v46, v68
	v_mov_b32_e32 v46, v43
	v_add_f32_e32 v43, v6, v34
	v_mul_f32_e32 v6, 0x3eedf032, v27
	v_fmac_f32_e32 v46, 0x3f62ad3f, v7
	v_fma_f32 v7, v79, s8, -v6
	v_add_f32_e32 v72, v46, v72
	v_add_f32_e32 v46, v7, v23
	v_mul_f32_e32 v7, 0x3eedf032, v26
	v_mov_b32_e32 v10, v7
	v_fmac_f32_e32 v10, 0x3f62ad3f, v80
	v_add_f32_e32 v39, v39, v47
	v_add_f32_e32 v47, v10, v38
	v_mul_f32_e32 v10, 0xbf29c268, v27
	v_fma_f32 v11, v79, s16, -v10
	v_fmac_f32_e32 v2, 0xbf788fa5, v79
	v_add_f32_e32 v63, v11, v39
	v_mul_f32_e32 v11, 0xbf29c268, v26
	v_add_f32_e32 v2, v2, v14
	v_mov_b32_e32 v14, v11
	v_fmac_f32_e32 v14, 0xbf3f9e67, v80
	v_add_f32_e32 v64, v14, v65
	v_mul_f32_e32 v14, 0x3f52af12, v27
	v_fma_f32 v15, v79, s9, -v14
	v_fma_f32 v3, v80, s17, -v3
	v_add_f32_e32 v30, v15, v66
	v_mul_f32_e32 v15, 0x3f52af12, v26
	v_add_f32_e32 v3, v3, v18
	v_mov_b32_e32 v18, v15
	v_fmac_f32_e32 v18, 0x3f116cb1, v80
	v_fmac_f32_e32 v6, 0x3f62ad3f, v79
	v_add_f32_e32 v31, v18, v68
	v_mul_f32_e32 v18, 0xbf6f5d39, v27
	v_add_f32_e32 v6, v6, v19
	v_fma_f32 v19, v79, s15, -v18
	v_fma_f32 v7, v80, s8, -v7
	v_add_f32_e32 v34, v19, v70
	v_mul_f32_e32 v19, 0xbf6f5d39, v26
	v_add_f32_e32 v7, v7, v22
	v_mov_b32_e32 v22, v19
	v_fmac_f32_e32 v10, 0xbf3f9e67, v79
	v_fmac_f32_e32 v22, 0xbeb58ec6, v80
	v_mul_f32_e32 v27, 0x3f7e222b, v27
	v_mul_f32_e32 v38, 0x3f7e222b, v26
	v_add_f32_e32 v10, v10, v35
	v_add_f32_e32 v35, v22, v72
	v_fma_f32 v22, v79, s14, -v27
	v_mov_b32_e32 v23, v38
	v_fmac_f32_e32 v27, 0x3df6dbef, v79
	s_movk_i32 s0, 0x68
	v_fma_f32 v11, v80, s16, -v11
	v_fmac_f32_e32 v14, 0x3f116cb1, v79
	v_fma_f32 v15, v80, s9, -v15
	v_fmac_f32_e32 v18, 0xbeb58ec6, v79
	;; [unrolled: 2-line block ×3, first 2 shown]
	v_add_f32_e32 v26, v27, v77
	v_fma_f32 v27, v80, s14, -v38
	v_mad_u32_u24 v38, v56, s0, v57
	v_cmp_gt_u32_e64 s[0:1], 12, v56
	v_add_f32_e32 v11, v11, v75
	v_add_f32_e32 v14, v14, v76
	;; [unrolled: 1-line block ×8, first 2 shown]
	s_waitcnt lgkmcnt(0)
	; wave barrier
	s_waitcnt lgkmcnt(0)
	ds_write2_b64 v38, v[54:55], v[42:43] offset1:1
	ds_write2_b64 v38, v[46:47], v[63:64] offset0:2 offset1:3
	ds_write2_b64 v38, v[30:31], v[34:35] offset0:4 offset1:5
	;; [unrolled: 1-line block ×5, first 2 shown]
	ds_write_b64 v38, v[2:3] offset:96
	s_and_saveexec_b64 s[6:7], s[0:1]
	s_cbranch_execz .LBB0_15
; %bb.14:
	v_sub_f32_e32 v39, v44, v52
	v_mul_f32_e32 v42, 0xbe750f2a, v39
	v_sub_f32_e32 v43, v40, v16
	v_add_f32_e32 v10, v53, v45
	v_mov_b32_e32 v2, v42
	v_mul_f32_e32 v46, 0x3eedf032, v43
	v_fmac_f32_e32 v2, 0xbf788fa5, v10
	v_add_f32_e32 v11, v17, v41
	v_mov_b32_e32 v3, v46
	v_sub_f32_e32 v47, v36, v12
	v_add_f32_e32 v2, v1, v2
	v_fmac_f32_e32 v3, 0x3f62ad3f, v11
	v_mul_f32_e32 v54, 0xbf29c268, v47
	v_add_f32_e32 v2, v3, v2
	v_add_f32_e32 v14, v13, v37
	v_mov_b32_e32 v3, v54
	v_sub_f32_e32 v55, v32, v8
	v_fmac_f32_e32 v3, 0xbf3f9e67, v14
	v_mul_f32_e32 v63, 0x3f52af12, v55
	v_add_f32_e32 v2, v3, v2
	v_add_f32_e32 v15, v9, v33
	v_mov_b32_e32 v3, v63
	v_sub_f32_e32 v64, v28, v4
	;; [unrolled: 6-line block ×4, first 2 shown]
	v_fmac_f32_e32 v3, 0x3df6dbef, v19
	v_add_f32_e32 v22, v52, v44
	v_mul_f32_e32 v69, 0xbe750f2a, v68
	v_sub_f32_e32 v70, v41, v17
	v_add_f32_e32 v3, v3, v2
	v_fma_f32 v2, v22, s17, -v69
	v_add_f32_e32 v23, v16, v40
	v_mul_f32_e32 v71, 0x3eedf032, v70
	v_sub_f32_e32 v72, v37, v13
	v_add_f32_e32 v2, v0, v2
	v_fma_f32 v6, v23, s8, -v71
	;; [unrolled: 5-line block ×5, first 2 shown]
	v_add_f32_e32 v31, v20, v24
	v_mul_f32_e32 v79, 0x3f7e222b, v78
	v_add_f32_e32 v2, v6, v2
	v_fma_f32 v6, v31, s14, -v79
	v_mul_f32_e32 v80, 0xbf29c268, v39
	v_add_f32_e32 v2, v6, v2
	v_mov_b32_e32 v6, v80
	v_mul_f32_e32 v81, 0x3f7e222b, v43
	v_fmac_f32_e32 v6, 0xbf3f9e67, v10
	v_mov_b32_e32 v7, v81
	v_add_f32_e32 v6, v1, v6
	v_fmac_f32_e32 v7, 0x3df6dbef, v11
	v_mul_f32_e32 v82, 0xbf52af12, v47
	v_add_f32_e32 v6, v7, v6
	v_mov_b32_e32 v7, v82
	v_fmac_f32_e32 v7, 0x3f116cb1, v14
	v_mul_f32_e32 v83, 0x3e750f2a, v55
	v_add_f32_e32 v6, v7, v6
	v_mov_b32_e32 v7, v83
	;; [unrolled: 4-line block ×4, first 2 shown]
	v_fmac_f32_e32 v7, 0xbeb58ec6, v19
	v_mul_f32_e32 v86, 0xbf29c268, v68
	v_add_f32_e32 v7, v7, v6
	v_fma_f32 v6, v22, s16, -v86
	v_mul_f32_e32 v87, 0x3f7e222b, v70
	v_add_f32_e32 v6, v0, v6
	v_fma_f32 v34, v23, s14, -v87
	;; [unrolled: 3-line block ×6, first 2 shown]
	v_mul_f32_e32 v92, 0xbf6f5d39, v39
	v_add_f32_e32 v6, v34, v6
	v_mov_b32_e32 v34, v92
	v_mul_f32_e32 v93, 0x3f29c268, v43
	v_fmac_f32_e32 v34, 0xbeb58ec6, v10
	v_mov_b32_e32 v35, v93
	v_add_f32_e32 v34, v1, v34
	v_fmac_f32_e32 v35, 0xbf3f9e67, v11
	v_mul_f32_e32 v94, 0x3eedf032, v47
	v_add_f32_e32 v34, v35, v34
	v_mov_b32_e32 v35, v94
	v_fmac_f32_e32 v35, 0x3f62ad3f, v14
	v_mul_f32_e32 v95, 0xbf7e222b, v55
	v_add_f32_e32 v34, v35, v34
	v_mov_b32_e32 v35, v95
	;; [unrolled: 4-line block ×4, first 2 shown]
	v_fmac_f32_e32 v35, 0x3f116cb1, v19
	v_mul_f32_e32 v98, 0xbf6f5d39, v68
	v_add_f32_e32 v35, v35, v34
	v_fma_f32 v34, v22, s15, -v98
	v_mul_f32_e32 v99, 0x3f29c268, v70
	v_add_f32_e32 v34, v0, v34
	v_fma_f32 v38, v23, s16, -v99
	;; [unrolled: 3-line block ×6, first 2 shown]
	v_mul_f32_e32 v104, 0xbf7e222b, v39
	v_add_f32_e32 v34, v38, v34
	v_mov_b32_e32 v38, v104
	v_mul_f32_e32 v105, 0xbe750f2a, v43
	v_fmac_f32_e32 v38, 0x3df6dbef, v10
	v_mov_b32_e32 v106, v105
	v_add_f32_e32 v38, v1, v38
	v_fmac_f32_e32 v106, 0xbf788fa5, v11
	v_add_f32_e32 v38, v106, v38
	v_mul_f32_e32 v106, 0x3f6f5d39, v47
	v_mov_b32_e32 v107, v106
	v_fmac_f32_e32 v107, 0xbeb58ec6, v14
	v_add_f32_e32 v38, v107, v38
	v_mul_f32_e32 v107, 0x3eedf032, v55
	v_mov_b32_e32 v108, v107
	v_fmac_f32_e32 v108, 0x3f62ad3f, v15
	v_add_f32_e32 v45, v1, v45
	v_add_f32_e32 v44, v0, v44
	v_mul_f32_e32 v110, 0xbf7e222b, v68
	v_add_f32_e32 v38, v108, v38
	v_mul_f32_e32 v108, 0xbf52af12, v64
	v_add_f32_e32 v41, v45, v41
	v_add_f32_e32 v40, v44, v40
	v_fma_f32 v44, v22, s14, -v110
	v_mul_f32_e32 v45, 0xbe750f2a, v70
	v_mov_b32_e32 v109, v108
	v_add_f32_e32 v44, v0, v44
	v_fma_f32 v111, v23, s17, -v45
	v_fmac_f32_e32 v109, 0x3f116cb1, v18
	v_add_f32_e32 v44, v111, v44
	v_mul_f32_e32 v111, 0x3f6f5d39, v72
	v_add_f32_e32 v38, v109, v38
	v_mul_f32_e32 v109, 0xbf29c268, v66
	v_fma_f32 v112, v26, s15, -v111
	v_add_f32_e32 v36, v40, v36
	v_mul_f32_e32 v40, 0x3eedf032, v74
	v_add_f32_e32 v44, v112, v44
	v_mov_b32_e32 v112, v109
	v_add_f32_e32 v41, v41, v37
	v_fma_f32 v37, v27, s8, -v40
	v_fmac_f32_e32 v112, 0xbf3f9e67, v19
	v_add_f32_e32 v37, v37, v44
	v_mul_f32_e32 v44, 0xbf52af12, v76
	v_add_f32_e32 v38, v112, v38
	v_fma_f32 v112, v30, s9, -v44
	v_add_f32_e32 v37, v112, v37
	v_mul_f32_e32 v112, 0xbf29c268, v78
	v_fma_f32 v113, v31, s16, -v112
	v_add_f32_e32 v37, v113, v37
	v_mul_f32_e32 v113, 0xbf52af12, v39
	v_mov_b32_e32 v114, v113
	v_add_f32_e32 v32, v36, v32
	v_mul_f32_e32 v36, 0xbf6f5d39, v43
	v_fmac_f32_e32 v114, 0x3f116cb1, v10
	v_add_f32_e32 v33, v41, v33
	v_mov_b32_e32 v41, v36
	v_add_f32_e32 v114, v1, v114
	v_fmac_f32_e32 v41, 0xbeb58ec6, v11
	v_add_f32_e32 v41, v41, v114
	v_mul_f32_e32 v114, 0xbe750f2a, v47
	v_mov_b32_e32 v115, v114
	v_fmac_f32_e32 v115, 0xbf788fa5, v14
	v_add_f32_e32 v41, v115, v41
	v_mul_f32_e32 v115, 0x3f29c268, v55
	v_mov_b32_e32 v116, v115
	v_add_f32_e32 v28, v32, v28
	v_fmac_f32_e32 v116, 0xbf3f9e67, v15
	v_add_f32_e32 v29, v33, v29
	v_add_f32_e32 v28, v28, v24
	v_mul_f32_e32 v39, 0xbeedf032, v39
	v_add_f32_e32 v41, v116, v41
	v_mul_f32_e32 v116, 0x3f7e222b, v64
	v_add_f32_e32 v29, v29, v25
	v_add_f32_e32 v28, v28, v20
	v_mov_b32_e32 v20, v39
	v_mul_f32_e32 v43, 0xbf52af12, v43
	v_mov_b32_e32 v117, v116
	v_add_f32_e32 v29, v29, v21
	v_fmac_f32_e32 v20, 0x3f62ad3f, v10
	v_mov_b32_e32 v21, v43
	v_fmac_f32_e32 v117, 0x3df6dbef, v18
	v_mul_f32_e32 v32, 0xbf52af12, v68
	v_add_f32_e32 v20, v1, v20
	v_fmac_f32_e32 v21, 0x3f116cb1, v11
	v_mul_f32_e32 v47, 0xbf7e222b, v47
	v_add_f32_e32 v41, v117, v41
	v_fma_f32 v33, v22, s9, -v32
	v_mul_f32_e32 v117, 0xbf6f5d39, v70
	v_add_f32_e32 v20, v21, v20
	v_mov_b32_e32 v21, v47
	v_add_f32_e32 v33, v0, v33
	v_fma_f32 v118, v23, s15, -v117
	v_mul_f32_e32 v119, 0xbe750f2a, v72
	v_fmac_f32_e32 v21, 0x3df6dbef, v14
	v_mul_f32_e32 v55, 0xbf6f5d39, v55
	v_add_f32_e32 v33, v118, v33
	v_fma_f32 v24, v26, s17, -v119
	v_mul_f32_e32 v120, 0x3f29c268, v74
	v_add_f32_e32 v20, v21, v20
	v_mov_b32_e32 v21, v55
	v_add_f32_e32 v24, v24, v33
	v_fma_f32 v25, v27, s16, -v120
	v_mul_f32_e32 v121, 0x3f7e222b, v76
	v_fmac_f32_e32 v21, 0xbeb58ec6, v15
	v_mul_f32_e32 v64, 0xbf29c268, v64
	v_mul_f32_e32 v118, 0x3eedf032, v66
	v_add_f32_e32 v24, v25, v24
	v_fma_f32 v25, v30, s14, -v121
	v_add_f32_e32 v20, v21, v20
	v_mov_b32_e32 v21, v64
	v_add_f32_e32 v24, v25, v24
	v_mov_b32_e32 v25, v118
	v_fmac_f32_e32 v21, 0xbf3f9e67, v18
	v_mul_f32_e32 v66, 0xbe750f2a, v66
	v_fmac_f32_e32 v25, 0x3f62ad3f, v19
	v_add_f32_e32 v20, v21, v20
	v_mov_b32_e32 v21, v66
	v_add_f32_e32 v25, v25, v41
	v_mul_f32_e32 v41, 0x3eedf032, v78
	v_fmac_f32_e32 v21, 0xbf788fa5, v19
	v_mul_f32_e32 v68, 0xbeedf032, v68
	v_fma_f32 v33, v31, s8, -v41
	v_add_f32_e32 v21, v21, v20
	v_fma_f32 v20, v22, s8, -v68
	v_mul_f32_e32 v70, 0xbf52af12, v70
	v_add_f32_e32 v4, v28, v4
	v_add_f32_e32 v24, v33, v24
	v_add_f32_e32 v20, v0, v20
	v_fma_f32 v33, v23, s9, -v70
	v_mul_f32_e32 v72, 0xbf7e222b, v72
	v_add_f32_e32 v5, v29, v5
	v_add_f32_e32 v4, v4, v8
	;; [unrolled: 5-line block ×4, first 2 shown]
	v_fma_f32 v8, v10, s17, -v42
	v_fma_f32 v12, v10, s16, -v80
	;; [unrolled: 1-line block ×4, first 2 shown]
	v_add_f32_e32 v20, v33, v20
	v_fma_f32 v33, v30, s16, -v76
	v_mul_f32_e32 v78, 0xbe750f2a, v78
	v_add_f32_e32 v5, v5, v17
	v_add_f32_e32 v8, v1, v8
	v_fma_f32 v9, v11, s8, -v46
	v_add_f32_e32 v12, v1, v12
	v_fma_f32 v13, v11, s14, -v81
	;; [unrolled: 2-line block ×9, first 2 shown]
	v_add_f32_e32 v20, v33, v20
	v_add_f32_e32 v8, v9, v8
	v_fma_f32 v9, v15, s9, -v63
	v_add_f32_e32 v12, v13, v12
	v_fma_f32 v13, v15, s17, -v83
	;; [unrolled: 2-line block ×4, first 2 shown]
	v_fma_f32 v33, v10, s9, -v113
	v_fma_f32 v10, v10, s8, -v39
	v_add_f32_e32 v8, v9, v8
	v_fma_f32 v9, v18, s15, -v65
	v_add_f32_e32 v12, v13, v12
	;; [unrolled: 2-line block ×5, first 2 shown]
	v_add_f32_e32 v1, v1, v10
	v_fma_f32 v10, v11, s9, -v43
	v_add_f32_e32 v8, v9, v8
	v_fma_f32 v9, v19, s14, -v67
	v_fmac_f32_e32 v69, 0xbf788fa5, v22
	v_add_f32_e32 v12, v13, v12
	v_fma_f32 v13, v19, s15, -v85
	v_fmac_f32_e32 v86, 0xbf3f9e67, v22
	;; [unrolled: 3-line block ×4, first 2 shown]
	v_fmac_f32_e32 v32, 0x3f116cb1, v22
	v_add_f32_e32 v1, v10, v1
	v_fma_f32 v10, v14, s14, -v47
	v_fmac_f32_e32 v68, 0x3f62ad3f, v22
	v_add_f32_e32 v9, v9, v8
	v_add_f32_e32 v8, v0, v69
	v_fmac_f32_e32 v71, 0x3f62ad3f, v23
	v_add_f32_e32 v13, v13, v12
	v_add_f32_e32 v12, v0, v86
	;; [unrolled: 3-line block ×4, first 2 shown]
	v_fmac_f32_e32 v45, 0xbf788fa5, v23
	v_fma_f32 v36, v11, s15, -v36
	v_add_f32_e32 v32, v0, v32
	v_fmac_f32_e32 v117, 0xbeb58ec6, v23
	v_add_f32_e32 v1, v10, v1
	v_fma_f32 v10, v15, s15, -v55
	v_add_f32_e32 v0, v0, v68
	v_fmac_f32_e32 v70, 0x3f116cb1, v23
	v_add_f32_e32 v8, v71, v8
	v_fmac_f32_e32 v73, 0xbf3f9e67, v26
	v_add_f32_e32 v12, v87, v12
	v_fmac_f32_e32 v88, 0x3f116cb1, v26
	v_add_f32_e32 v16, v99, v16
	v_fmac_f32_e32 v100, 0x3f62ad3f, v26
	v_add_f32_e32 v28, v45, v28
	v_fmac_f32_e32 v111, 0xbeb58ec6, v26
	v_add_f32_e32 v33, v36, v33
	v_fma_f32 v36, v14, s17, -v114
	v_add_f32_e32 v32, v117, v32
	v_fmac_f32_e32 v119, 0xbf788fa5, v26
	v_add_f32_e32 v1, v10, v1
	v_fma_f32 v10, v18, s16, -v64
	v_add_f32_e32 v0, v70, v0
	v_fmac_f32_e32 v72, 0x3df6dbef, v26
	v_add_f32_e32 v8, v73, v8
	v_fmac_f32_e32 v75, 0x3f116cb1, v27
	v_add_f32_e32 v12, v88, v12
	v_fmac_f32_e32 v89, 0xbf788fa5, v27
	v_add_f32_e32 v16, v100, v16
	v_fmac_f32_e32 v101, 0x3df6dbef, v27
	v_add_f32_e32 v28, v111, v28
	v_fmac_f32_e32 v40, 0x3f62ad3f, v27
	v_add_f32_e32 v33, v36, v33
	;; [unrolled: 16-line block ×3, first 2 shown]
	v_fma_f32 v36, v18, s14, -v116
	v_add_f32_e32 v32, v120, v32
	v_fmac_f32_e32 v121, 0x3df6dbef, v30
	v_add_f32_e32 v1, v10, v1
	v_add_f32_e32 v0, v74, v0
	v_fmac_f32_e32 v76, 0xbf3f9e67, v30
	v_mul_i32_i24_e32 v10, 0x68, v60
	v_add_f32_e32 v5, v5, v53
	v_add_f32_e32 v4, v4, v52
	;; [unrolled: 1-line block ×3, first 2 shown]
	v_fmac_f32_e32 v79, 0x3df6dbef, v31
	v_add_f32_e32 v12, v90, v12
	v_fmac_f32_e32 v91, 0xbeb58ec6, v31
	v_add_f32_e32 v16, v102, v16
	;; [unrolled: 2-line block ×4, first 2 shown]
	v_fma_f32 v36, v19, s8, -v118
	v_add_f32_e32 v32, v121, v32
	v_fmac_f32_e32 v41, 0x3f62ad3f, v31
	v_add_f32_e32 v0, v76, v0
	v_fmac_f32_e32 v78, 0xbf788fa5, v31
	v_add3_u32 v10, 0, v10, v61
	v_add_f32_e32 v8, v79, v8
	v_add_f32_e32 v12, v91, v12
	;; [unrolled: 1-line block ×7, first 2 shown]
	ds_write2_b64 v10, v[4:5], v[20:21] offset1:1
	ds_write2_b64 v10, v[24:25], v[37:38] offset0:2 offset1:3
	ds_write2_b64 v10, v[34:35], v[6:7] offset0:4 offset1:5
	;; [unrolled: 1-line block ×5, first 2 shown]
	ds_write_b64 v10, v[0:1] offset:96
.LBB0_15:
	s_or_b64 exec, exec, s[6:7]
	v_lshlrev_b32_e32 v7, 2, v56
	v_mov_b32_e32 v8, 0
	v_lshlrev_b64 v[0:1], 3, v[7:8]
	v_mov_b32_e32 v16, s13
	v_add_co_u32_e64 v9, s[0:1], s12, v0
	v_addc_co_u32_e64 v10, s[0:1], v16, v1, s[0:1]
	v_add_u32_e32 v17, 26, v56
	s_movk_i32 s0, 0x4f
	v_mul_lo_u16_sdwa v1, v17, s0 dst_sel:DWORD dst_unused:UNUSED_PAD src0_sel:BYTE_0 src1_sel:DWORD
	v_lshrrev_b16_e32 v1, 10, v1
	v_mul_lo_u16_e32 v1, 13, v1
	v_mov_b32_e32 v0, 5
	v_sub_u16_e32 v20, v17, v1
	v_lshlrev_b32_sdwa v1, v0, v20 dst_sel:DWORD dst_unused:UNUSED_PAD src0_sel:DWORD src1_sel:BYTE_0
	v_add_u32_e32 v19, 39, v56
	s_waitcnt lgkmcnt(0)
	; wave barrier
	s_waitcnt lgkmcnt(0)
	global_load_dwordx4 v[23:26], v[9:10], off
	global_load_dwordx4 v[27:30], v[9:10], off offset:16
	global_load_dwordx4 v[31:34], v1, s[12:13]
	global_load_dwordx4 v[35:38], v1, s[12:13] offset:16
	v_mul_lo_u16_sdwa v1, v19, s0 dst_sel:DWORD dst_unused:UNUSED_PAD src0_sel:BYTE_0 src1_sel:DWORD
	v_lshrrev_b16_e32 v1, 10, v1
	v_mul_lo_u16_e32 v1, 13, v1
	v_sub_u16_e32 v21, v19, v1
	v_lshlrev_b32_sdwa v1, v0, v21 dst_sel:DWORD dst_unused:UNUSED_PAD src0_sel:DWORD src1_sel:BYTE_0
	v_add_u32_e32 v18, 52, v56
	global_load_dwordx4 v[39:42], v1, s[12:13]
	global_load_dwordx4 v[43:46], v1, s[12:13] offset:16
	v_mul_lo_u16_sdwa v1, v18, s0 dst_sel:DWORD dst_unused:UNUSED_PAD src0_sel:BYTE_0 src1_sel:DWORD
	v_lshrrev_b16_e32 v1, 10, v1
	v_mul_lo_u16_e32 v1, 13, v1
	v_sub_u16_e32 v22, v18, v1
	v_lshlrev_b32_sdwa v0, v0, v22 dst_sel:DWORD dst_unused:UNUSED_PAD src0_sel:DWORD src1_sel:BYTE_0
	ds_read_b64 v[11:12], v62
	global_load_dwordx4 v[52:55], v0, s[12:13] offset:16
	global_load_dwordx4 v[63:66], v0, s[12:13]
	ds_read2_b64 v[0:3], v58 offset0:52 offset1:65
	ds_read2_b64 v[67:70], v58 offset0:130 offset1:143
	ds_read2_b64 v[71:74], v58 offset0:182 offset1:195
	ds_read2_b64 v[75:78], v59 offset0:4 offset1:17
	ds_read2_b64 v[79:82], v58 offset0:78 offset1:91
	ds_read2_b64 v[83:86], v58 offset0:208 offset1:221
	ds_read2_b64 v[4:7], v58 offset0:26 offset1:39
	ds_read2_b64 v[87:90], v58 offset0:156 offset1:169
	ds_read2_b64 v[91:94], v59 offset0:30 offset1:43
	ds_read2_b64 v[95:98], v58 offset0:104 offset1:117
	ds_read2_b64 v[99:102], v58 offset0:234 offset1:247
	v_lshlrev_b32_e32 v13, 3, v60
	v_add3_u32 v15, 0, v13, v61
	ds_read_b64 v[13:14], v15
	ds_read_b64 v[103:104], v58 offset:2496
	s_waitcnt lgkmcnt(0)
	; wave barrier
	s_waitcnt vmcnt(7) lgkmcnt(0)
	v_mul_f32_e32 v47, v3, v24
	v_mul_f32_e32 v105, v2, v24
	;; [unrolled: 1-line block ×4, first 2 shown]
	s_waitcnt vmcnt(6)
	v_mul_f32_e32 v108, v74, v28
	v_mul_f32_e32 v109, v73, v28
	;; [unrolled: 1-line block ×12, first 2 shown]
	v_fma_f32 v30, v2, v23, -v47
	s_waitcnt vmcnt(5)
	v_mul_f32_e32 v2, v82, v32
	v_fmac_f32_e32 v107, v68, v25
	v_fma_f32 v68, v75, v29, -v110
	v_fma_f32 v75, v81, v31, -v2
	v_mul_f32_e32 v2, v88, v34
	v_fmac_f32_e32 v109, v74, v27
	v_fma_f32 v74, v77, v29, -v28
	v_fma_f32 v77, v87, v33, -v2
	s_waitcnt vmcnt(4)
	v_mul_f32_e32 v2, v86, v36
	v_fma_f32 v47, v67, v25, -v106
	v_fma_f32 v67, v73, v27, -v108
	v_fma_f32 v73, v79, v23, -v112
	v_fma_f32 v79, v85, v35, -v2
	v_mul_f32_e32 v2, v92, v38
	v_fmac_f32_e32 v111, v76, v29
	v_mul_f32_e32 v76, v81, v32
	v_fma_f32 v81, v91, v37, -v2
	s_waitcnt vmcnt(3)
	v_mul_f32_e32 v2, v96, v40
	v_fmac_f32_e32 v114, v70, v25
	v_fma_f32 v70, v83, v27, -v26
	v_fma_f32 v83, v95, v39, -v2
	v_mul_f32_e32 v2, v90, v42
	v_fmac_f32_e32 v105, v3, v23
	v_fmac_f32_e32 v113, v80, v23
	v_mul_f32_e32 v80, v85, v36
	v_fma_f32 v85, v89, v41, -v2
	s_waitcnt vmcnt(2)
	v_mul_f32_e32 v2, v100, v44
	v_add_f32_e32 v3, v47, v67
	v_fmac_f32_e32 v116, v78, v29
	v_mul_f32_e32 v78, v87, v34
	v_fma_f32 v87, v99, v43, -v2
	v_mul_f32_e32 v2, v94, v46
	v_fma_f32 v23, -0.5, v3, v11
	v_fma_f32 v69, v69, v25, -v24
	v_fmac_f32_e32 v80, v86, v35
	v_mul_f32_e32 v86, v89, v42
	v_fma_f32 v89, v93, v45, -v2
	s_waitcnt vmcnt(0)
	v_mul_f32_e32 v2, v98, v64
	v_sub_f32_e32 v3, v105, v111
	v_mov_b32_e32 v25, v23
	v_fmac_f32_e32 v115, v84, v27
	v_fmac_f32_e32 v76, v82, v31
	v_mul_f32_e32 v82, v91, v38
	v_fmac_f32_e32 v86, v90, v41
	v_mul_f32_e32 v90, v93, v46
	v_fma_f32 v91, v97, v63, -v2
	v_mul_f32_e32 v2, v72, v66
	v_fmac_f32_e32 v25, 0x3f737871, v3
	v_sub_f32_e32 v24, v107, v109
	v_sub_f32_e32 v26, v30, v47
	;; [unrolled: 1-line block ×3, first 2 shown]
	v_fmac_f32_e32 v23, 0xbf737871, v3
	v_fmac_f32_e32 v90, v94, v45
	v_fma_f32 v93, v71, v65, -v2
	v_mul_f32_e32 v94, v71, v66
	v_mul_f32_e32 v2, v102, v53
	v_fmac_f32_e32 v25, 0x3f167918, v24
	v_add_f32_e32 v26, v26, v27
	v_fmac_f32_e32 v23, 0xbf167918, v24
	v_mul_f32_e32 v84, v95, v40
	v_fmac_f32_e32 v94, v72, v65
	v_fma_f32 v72, v101, v52, -v2
	v_mul_f32_e32 v2, v104, v55
	v_fmac_f32_e32 v25, 0x3e9e377a, v26
	v_fmac_f32_e32 v23, 0x3e9e377a, v26
	v_add_f32_e32 v26, v30, v68
	v_fmac_f32_e32 v84, v96, v39
	v_fma_f32 v96, v103, v54, -v2
	v_add_f32_e32 v2, v11, v30
	v_fma_f32 v11, -0.5, v26, v11
	v_mov_b32_e32 v27, v11
	v_fmac_f32_e32 v27, 0xbf737871, v24
	v_sub_f32_e32 v26, v47, v30
	v_sub_f32_e32 v28, v67, v68
	v_fmac_f32_e32 v11, 0x3f737871, v24
	v_add_f32_e32 v24, v107, v109
	v_fmac_f32_e32 v27, 0x3f167918, v3
	v_add_f32_e32 v26, v26, v28
	v_fmac_f32_e32 v11, 0xbf167918, v3
	v_fma_f32 v24, -0.5, v24, v12
	v_fmac_f32_e32 v27, 0x3e9e377a, v26
	v_fmac_f32_e32 v11, 0x3e9e377a, v26
	v_sub_f32_e32 v29, v30, v68
	v_mov_b32_e32 v26, v24
	v_fmac_f32_e32 v26, 0xbf737871, v29
	v_sub_f32_e32 v30, v47, v67
	v_sub_f32_e32 v28, v105, v107
	;; [unrolled: 1-line block ×3, first 2 shown]
	v_fmac_f32_e32 v24, 0x3f737871, v29
	v_fmac_f32_e32 v26, 0xbf167918, v30
	v_add_f32_e32 v28, v28, v31
	v_fmac_f32_e32 v24, 0x3f167918, v30
	v_fmac_f32_e32 v26, 0x3e9e377a, v28
	;; [unrolled: 1-line block ×3, first 2 shown]
	v_add_f32_e32 v28, v105, v111
	v_add_f32_e32 v3, v12, v105
	v_fmac_f32_e32 v12, -0.5, v28
	v_mov_b32_e32 v28, v12
	v_fmac_f32_e32 v28, 0x3f737871, v30
	v_sub_f32_e32 v31, v107, v105
	v_sub_f32_e32 v32, v109, v111
	v_fmac_f32_e32 v12, 0xbf737871, v30
	v_fmac_f32_e32 v28, 0xbf167918, v29
	v_add_f32_e32 v31, v31, v32
	v_fmac_f32_e32 v12, 0x3f167918, v29
	v_add_f32_e32 v30, v69, v70
	v_fmac_f32_e32 v28, 0x3e9e377a, v31
	v_fmac_f32_e32 v12, 0x3e9e377a, v31
	v_fma_f32 v31, -0.5, v30, v13
	v_fmac_f32_e32 v78, v88, v33
	v_sub_f32_e32 v30, v113, v116
	v_mov_b32_e32 v33, v31
	v_fmac_f32_e32 v33, 0x3f737871, v30
	v_sub_f32_e32 v32, v114, v115
	v_sub_f32_e32 v34, v73, v69
	v_sub_f32_e32 v35, v74, v70
	v_fmac_f32_e32 v31, 0xbf737871, v30
	v_fmac_f32_e32 v33, 0x3f167918, v32
	v_add_f32_e32 v34, v34, v35
	v_fmac_f32_e32 v31, 0xbf167918, v32
	v_fmac_f32_e32 v33, 0x3e9e377a, v34
	;; [unrolled: 1-line block ×3, first 2 shown]
	v_add_f32_e32 v34, v73, v74
	v_add_f32_e32 v29, v13, v73
	v_fma_f32 v13, -0.5, v34, v13
	v_mov_b32_e32 v35, v13
	v_fmac_f32_e32 v35, 0xbf737871, v32
	v_sub_f32_e32 v34, v69, v73
	v_sub_f32_e32 v36, v70, v74
	v_fmac_f32_e32 v13, 0x3f737871, v32
	v_add_f32_e32 v32, v114, v115
	v_fmac_f32_e32 v35, 0x3f167918, v30
	v_add_f32_e32 v34, v34, v36
	v_fmac_f32_e32 v13, 0xbf167918, v30
	v_fma_f32 v32, -0.5, v32, v14
	v_fmac_f32_e32 v82, v92, v37
	v_fmac_f32_e32 v35, 0x3e9e377a, v34
	;; [unrolled: 1-line block ×3, first 2 shown]
	v_sub_f32_e32 v37, v73, v74
	v_mov_b32_e32 v34, v32
	v_fmac_f32_e32 v34, 0xbf737871, v37
	v_sub_f32_e32 v38, v69, v70
	v_sub_f32_e32 v36, v113, v114
	;; [unrolled: 1-line block ×3, first 2 shown]
	v_fmac_f32_e32 v32, 0x3f737871, v37
	v_fmac_f32_e32 v34, 0xbf167918, v38
	v_add_f32_e32 v36, v36, v39
	v_fmac_f32_e32 v32, 0x3f167918, v38
	v_fmac_f32_e32 v34, 0x3e9e377a, v36
	;; [unrolled: 1-line block ×3, first 2 shown]
	v_add_f32_e32 v36, v113, v116
	v_add_f32_e32 v30, v14, v113
	v_fmac_f32_e32 v14, -0.5, v36
	v_mov_b32_e32 v36, v14
	v_fmac_f32_e32 v36, 0x3f737871, v38
	v_sub_f32_e32 v39, v114, v113
	v_sub_f32_e32 v40, v115, v116
	v_fmac_f32_e32 v14, 0xbf737871, v38
	v_fmac_f32_e32 v36, 0xbf167918, v37
	v_add_f32_e32 v39, v39, v40
	v_fmac_f32_e32 v14, 0x3f167918, v37
	v_add_f32_e32 v38, v77, v79
	v_fmac_f32_e32 v36, 0x3e9e377a, v39
	v_fmac_f32_e32 v14, 0x3e9e377a, v39
	v_fma_f32 v39, -0.5, v38, v4
	v_mul_f32_e32 v88, v99, v44
	v_sub_f32_e32 v38, v76, v82
	v_mov_b32_e32 v41, v39
	v_fmac_f32_e32 v88, v100, v43
	v_fmac_f32_e32 v41, 0x3f737871, v38
	v_sub_f32_e32 v40, v78, v80
	v_sub_f32_e32 v42, v75, v77
	;; [unrolled: 1-line block ×3, first 2 shown]
	v_fmac_f32_e32 v39, 0xbf737871, v38
	v_fmac_f32_e32 v41, 0x3f167918, v40
	v_add_f32_e32 v42, v42, v43
	v_fmac_f32_e32 v39, 0xbf167918, v40
	v_fmac_f32_e32 v41, 0x3e9e377a, v42
	;; [unrolled: 1-line block ×3, first 2 shown]
	v_add_f32_e32 v42, v75, v81
	v_add_f32_e32 v37, v4, v75
	v_fma_f32 v4, -0.5, v42, v4
	v_mov_b32_e32 v43, v4
	v_fmac_f32_e32 v43, 0xbf737871, v40
	v_sub_f32_e32 v42, v77, v75
	v_sub_f32_e32 v44, v79, v81
	v_fmac_f32_e32 v4, 0x3f737871, v40
	v_add_f32_e32 v40, v78, v80
	v_fmac_f32_e32 v43, 0x3f167918, v38
	v_add_f32_e32 v42, v42, v44
	v_fmac_f32_e32 v4, 0xbf167918, v38
	v_fma_f32 v40, -0.5, v40, v5
	v_fmac_f32_e32 v43, 0x3e9e377a, v42
	v_fmac_f32_e32 v4, 0x3e9e377a, v42
	v_sub_f32_e32 v45, v75, v81
	v_mov_b32_e32 v42, v40
	v_add_f32_e32 v2, v2, v47
	v_fmac_f32_e32 v42, 0xbf737871, v45
	v_sub_f32_e32 v46, v77, v79
	v_sub_f32_e32 v44, v76, v78
	;; [unrolled: 1-line block ×3, first 2 shown]
	v_fmac_f32_e32 v40, 0x3f737871, v45
	v_fmac_f32_e32 v42, 0xbf167918, v46
	v_add_f32_e32 v44, v44, v47
	v_fmac_f32_e32 v40, 0x3f167918, v46
	v_fmac_f32_e32 v42, 0x3e9e377a, v44
	;; [unrolled: 1-line block ×3, first 2 shown]
	v_add_f32_e32 v44, v76, v82
	v_add_f32_e32 v38, v5, v76
	v_fma_f32 v5, -0.5, v44, v5
	v_mul_f32_e32 v95, v101, v53
	v_mov_b32_e32 v44, v5
	v_fmac_f32_e32 v95, v102, v52
	v_fmac_f32_e32 v44, 0x3f737871, v46
	v_sub_f32_e32 v47, v78, v76
	v_sub_f32_e32 v52, v80, v82
	v_fmac_f32_e32 v5, 0xbf737871, v46
	v_add_f32_e32 v46, v85, v87
	v_mul_f32_e32 v92, v97, v64
	v_mul_f32_e32 v97, v103, v55
	v_add_f32_e32 v47, v47, v52
	v_fma_f32 v52, -0.5, v46, v6
	v_fmac_f32_e32 v97, v104, v54
	v_fmac_f32_e32 v44, 0xbf167918, v45
	;; [unrolled: 1-line block ×3, first 2 shown]
	v_sub_f32_e32 v46, v84, v90
	v_mov_b32_e32 v54, v52
	v_fmac_f32_e32 v44, 0x3e9e377a, v47
	v_fmac_f32_e32 v5, 0x3e9e377a, v47
	;; [unrolled: 1-line block ×3, first 2 shown]
	v_sub_f32_e32 v47, v86, v88
	v_sub_f32_e32 v53, v83, v85
	;; [unrolled: 1-line block ×3, first 2 shown]
	v_fmac_f32_e32 v52, 0xbf737871, v46
	v_fmac_f32_e32 v54, 0x3f167918, v47
	v_add_f32_e32 v53, v53, v55
	v_fmac_f32_e32 v52, 0xbf167918, v47
	v_fmac_f32_e32 v54, 0x3e9e377a, v53
	;; [unrolled: 1-line block ×3, first 2 shown]
	v_add_f32_e32 v53, v83, v89
	v_add_f32_e32 v45, v6, v83
	v_fma_f32 v6, -0.5, v53, v6
	v_fmac_f32_e32 v92, v98, v63
	v_mov_b32_e32 v63, v6
	v_fmac_f32_e32 v63, 0xbf737871, v47
	v_sub_f32_e32 v53, v85, v83
	v_sub_f32_e32 v55, v87, v89
	v_fmac_f32_e32 v6, 0x3f737871, v47
	v_fmac_f32_e32 v63, 0x3f167918, v46
	v_add_f32_e32 v53, v53, v55
	v_fmac_f32_e32 v6, 0xbf167918, v46
	v_add_f32_e32 v47, v86, v88
	v_fmac_f32_e32 v63, 0x3e9e377a, v53
	v_fmac_f32_e32 v6, 0x3e9e377a, v53
	v_fma_f32 v53, -0.5, v47, v7
	v_sub_f32_e32 v47, v83, v89
	v_mov_b32_e32 v55, v53
	v_fmac_f32_e32 v55, 0xbf737871, v47
	v_sub_f32_e32 v65, v85, v87
	v_sub_f32_e32 v64, v84, v86
	;; [unrolled: 1-line block ×3, first 2 shown]
	v_fmac_f32_e32 v53, 0x3f737871, v47
	v_fmac_f32_e32 v55, 0xbf167918, v65
	v_add_f32_e32 v64, v64, v66
	v_fmac_f32_e32 v53, 0x3f167918, v65
	v_fmac_f32_e32 v55, 0x3e9e377a, v64
	;; [unrolled: 1-line block ×3, first 2 shown]
	v_add_f32_e32 v64, v84, v90
	v_add_f32_e32 v46, v7, v84
	v_fmac_f32_e32 v7, -0.5, v64
	v_mov_b32_e32 v64, v7
	v_fmac_f32_e32 v64, 0x3f737871, v65
	v_fmac_f32_e32 v7, 0xbf737871, v65
	;; [unrolled: 1-line block ×4, first 2 shown]
	v_add_f32_e32 v47, v0, v91
	v_add_f32_e32 v47, v47, v93
	;; [unrolled: 1-line block ×4, first 2 shown]
	v_sub_f32_e32 v66, v86, v84
	v_sub_f32_e32 v67, v88, v90
	v_add_f32_e32 v65, v47, v96
	v_add_f32_e32 v47, v93, v72
	v_add_f32_e32 v66, v66, v67
	v_fma_f32 v67, -0.5, v47, v0
	v_add_f32_e32 v29, v29, v69
	v_sub_f32_e32 v47, v92, v97
	v_mov_b32_e32 v69, v67
	v_add_f32_e32 v2, v2, v68
	v_add_f32_e32 v29, v29, v70
	v_fmac_f32_e32 v64, 0x3e9e377a, v66
	v_fmac_f32_e32 v7, 0x3e9e377a, v66
	;; [unrolled: 1-line block ×3, first 2 shown]
	v_sub_f32_e32 v66, v94, v95
	v_sub_f32_e32 v68, v91, v93
	;; [unrolled: 1-line block ×3, first 2 shown]
	v_fmac_f32_e32 v67, 0xbf737871, v47
	v_fmac_f32_e32 v69, 0x3f167918, v66
	v_add_f32_e32 v68, v68, v70
	v_fmac_f32_e32 v67, 0xbf167918, v66
	v_fmac_f32_e32 v69, 0x3e9e377a, v68
	;; [unrolled: 1-line block ×3, first 2 shown]
	v_add_f32_e32 v68, v91, v96
	v_fma_f32 v0, -0.5, v68, v0
	v_mov_b32_e32 v71, v0
	v_fmac_f32_e32 v71, 0xbf737871, v66
	v_fmac_f32_e32 v0, 0x3f737871, v66
	;; [unrolled: 1-line block ×4, first 2 shown]
	v_add_f32_e32 v47, v1, v92
	v_add_f32_e32 v47, v47, v94
	v_sub_f32_e32 v68, v93, v91
	v_sub_f32_e32 v70, v72, v96
	v_add_f32_e32 v47, v47, v95
	v_add_f32_e32 v68, v68, v70
	;; [unrolled: 1-line block ×5, first 2 shown]
	v_fmac_f32_e32 v71, 0x3e9e377a, v68
	v_fmac_f32_e32 v0, 0x3e9e377a, v68
	v_fma_f32 v68, -0.5, v47, v1
	v_add_f32_e32 v3, v3, v109
	v_add_f32_e32 v30, v30, v114
	v_sub_f32_e32 v47, v91, v96
	v_mov_b32_e32 v70, v68
	v_add_f32_e32 v3, v3, v111
	v_add_f32_e32 v29, v29, v74
	;; [unrolled: 1-line block ×3, first 2 shown]
	v_fmac_f32_e32 v70, 0xbf737871, v47
	v_sub_f32_e32 v73, v93, v72
	v_sub_f32_e32 v72, v92, v94
	;; [unrolled: 1-line block ×3, first 2 shown]
	v_fmac_f32_e32 v68, 0x3f737871, v47
	v_add_f32_e32 v30, v30, v116
	v_add_f32_e32 v37, v37, v77
	;; [unrolled: 1-line block ×3, first 2 shown]
	v_fmac_f32_e32 v70, 0xbf167918, v73
	v_add_f32_e32 v72, v72, v74
	v_fmac_f32_e32 v68, 0x3f167918, v73
	ds_write2_b64 v58, v[2:3], v[25:26] offset1:13
	ds_write2_b64 v58, v[27:28], v[11:12] offset0:26 offset1:39
	ds_write2_b64 v58, v[23:24], v[29:30] offset0:52 offset1:65
	;; [unrolled: 1-line block ×4, first 2 shown]
	v_mov_b32_e32 v2, 3
	v_add_f32_e32 v37, v37, v79
	v_add_f32_e32 v38, v38, v80
	v_fmac_f32_e32 v70, 0x3e9e377a, v72
	v_fmac_f32_e32 v68, 0x3e9e377a, v72
	v_add_f32_e32 v72, v92, v97
	v_lshlrev_b32_sdwa v3, v2, v20 dst_sel:DWORD dst_unused:UNUSED_PAD src0_sel:DWORD src1_sel:BYTE_0
	v_add_f32_e32 v37, v37, v81
	v_add_f32_e32 v38, v38, v82
	;; [unrolled: 1-line block ×4, first 2 shown]
	v_fmac_f32_e32 v1, -0.5, v72
	v_add3_u32 v3, 0, v3, v61
	v_add_f32_e32 v45, v45, v87
	v_add_f32_e32 v46, v46, v88
	v_mov_b32_e32 v72, v1
	v_sub_f32_e32 v74, v94, v92
	v_sub_f32_e32 v75, v95, v97
	v_fmac_f32_e32 v1, 0xbf737871, v73
	ds_write2_b64 v3, v[37:38], v[41:42] offset0:130 offset1:143
	ds_write2_b64 v3, v[43:44], v[4:5] offset0:156 offset1:169
	ds_write_b64 v3, v[39:40] offset:1456
	v_lshlrev_b32_sdwa v3, v2, v21 dst_sel:DWORD dst_unused:UNUSED_PAD src0_sel:DWORD src1_sel:BYTE_0
	v_lshlrev_b32_sdwa v2, v2, v22 dst_sel:DWORD dst_unused:UNUSED_PAD src0_sel:DWORD src1_sel:BYTE_0
	v_add_f32_e32 v45, v45, v89
	v_add_f32_e32 v46, v46, v90
	v_fmac_f32_e32 v72, 0x3f737871, v73
	v_add_f32_e32 v74, v74, v75
	v_fmac_f32_e32 v1, 0x3f167918, v47
	v_add3_u32 v3, 0, v3, v61
	v_add3_u32 v2, 0, v2, v61
	v_fmac_f32_e32 v72, 0xbf167918, v47
	v_fmac_f32_e32 v1, 0x3e9e377a, v74
	ds_write2_b64 v3, v[45:46], v[54:55] offset0:195 offset1:208
	ds_write2_b64 v3, v[63:64], v[6:7] offset0:221 offset1:234
	ds_write_b64 v3, v[52:53] offset:1976
	v_add_u32_e32 v3, 0x800, v2
	v_lshlrev_b32_e32 v7, 2, v60
	v_fmac_f32_e32 v72, 0x3e9e377a, v74
	ds_write2_b64 v3, v[65:66], v[69:70] offset0:4 offset1:17
	ds_write2_b64 v3, v[71:72], v[0:1] offset0:30 offset1:43
	ds_write_b64 v2, v[67:68] offset:2496
	s_waitcnt lgkmcnt(0)
	; wave barrier
	s_waitcnt lgkmcnt(0)
	global_load_dwordx4 v[20:23], v[9:10], off offset:416
	global_load_dwordx4 v[24:27], v[9:10], off offset:432
	v_lshlrev_b64 v[0:1], 3, v[7:8]
	v_lshlrev_b32_e32 v7, 2, v17
	v_add_co_u32_e64 v0, s[0:1], s12, v0
	v_addc_co_u32_e64 v1, s[0:1], v16, v1, s[0:1]
	global_load_dwordx4 v[28:31], v[0:1], off offset:416
	global_load_dwordx4 v[32:35], v[0:1], off offset:432
	v_lshlrev_b64 v[0:1], 3, v[7:8]
	v_lshlrev_b32_e32 v7, 2, v19
	v_add_co_u32_e64 v0, s[0:1], s12, v0
	v_addc_co_u32_e64 v1, s[0:1], v16, v1, s[0:1]
	;; [unrolled: 6-line block ×3, first 2 shown]
	global_load_dwordx4 v[44:47], v[0:1], off offset:416
	global_load_dwordx4 v[52:55], v[0:1], off offset:432
	v_lshlrev_b64 v[0:1], 3, v[7:8]
	v_add_co_u32_e64 v0, s[0:1], s12, v0
	v_addc_co_u32_e64 v1, s[0:1], v16, v1, s[0:1]
	global_load_dwordx4 v[16:19], v[0:1], off offset:416
	global_load_dwordx4 v[63:66], v[0:1], off offset:432
	ds_read_b64 v[10:11], v62
	ds_read2_b64 v[0:3], v58 offset0:52 offset1:65
	ds_read2_b64 v[67:70], v58 offset0:130 offset1:143
	;; [unrolled: 1-line block ×11, first 2 shown]
	ds_read_b64 v[8:9], v15
	ds_read_b64 v[12:13], v58 offset:2496
	s_waitcnt lgkmcnt(0)
	; wave barrier
	s_waitcnt vmcnt(9) lgkmcnt(0)
	v_mul_f32_e32 v14, v21, v3
	v_fma_f32 v14, v20, v2, -v14
	v_mul_f32_e32 v21, v21, v2
	v_mul_f32_e32 v2, v23, v68
	v_fmac_f32_e32 v21, v20, v3
	v_fma_f32 v20, v22, v67, -v2
	v_mul_f32_e32 v23, v23, v67
	s_waitcnt vmcnt(8)
	v_mul_f32_e32 v2, v25, v74
	v_fmac_f32_e32 v23, v22, v68
	v_fma_f32 v22, v24, v73, -v2
	v_mul_f32_e32 v25, v25, v73
	v_mul_f32_e32 v2, v76, v27
	v_fmac_f32_e32 v25, v24, v74
	v_fma_f32 v24, v75, v26, -v2
	s_waitcnt vmcnt(7)
	v_mul_f32_e32 v2, v80, v29
	v_fma_f32 v60, v79, v28, -v2
	v_mul_f32_e32 v29, v79, v29
	v_mul_f32_e32 v2, v70, v31
	v_fmac_f32_e32 v29, v80, v28
	v_fma_f32 v28, v69, v30, -v2
	v_mul_f32_e32 v31, v69, v31
	s_waitcnt vmcnt(6)
	v_mul_f32_e32 v2, v84, v33
	v_fmac_f32_e32 v31, v70, v30
	v_fma_f32 v30, v83, v32, -v2
	v_mul_f32_e32 v33, v83, v33
	v_mul_f32_e32 v2, v78, v35
	v_fmac_f32_e32 v33, v84, v32
	v_fma_f32 v32, v77, v34, -v2
	s_waitcnt vmcnt(5)
	;; [unrolled: 16-line block ×4, first 2 shown]
	v_mul_f32_e32 v2, v98, v17
	v_fma_f32 v67, v97, v16, -v2
	v_mul_f32_e32 v2, v72, v19
	v_fma_f32 v69, v71, v18, -v2
	s_waitcnt vmcnt(0)
	v_mul_f32_e32 v2, v102, v64
	v_mul_f32_e32 v27, v75, v27
	;; [unrolled: 1-line block ×3, first 2 shown]
	v_fma_f32 v71, v101, v63, -v2
	v_mul_f32_e32 v64, v101, v64
	v_mul_f32_e32 v2, v13, v66
	v_add_f32_e32 v3, v20, v22
	v_fmac_f32_e32 v27, v76, v26
	v_mul_f32_e32 v68, v97, v17
	v_fmac_f32_e32 v64, v102, v63
	v_fma_f32 v63, v12, v65, -v2
	v_mul_f32_e32 v66, v12, v66
	v_fma_f32 v12, -0.5, v3, v10
	v_fmac_f32_e32 v68, v98, v16
	v_sub_f32_e32 v3, v21, v27
	v_mov_b32_e32 v16, v12
	v_fmac_f32_e32 v70, v72, v18
	v_fmac_f32_e32 v66, v13, v65
	;; [unrolled: 1-line block ×3, first 2 shown]
	v_sub_f32_e32 v13, v23, v25
	v_sub_f32_e32 v17, v14, v20
	;; [unrolled: 1-line block ×3, first 2 shown]
	v_fmac_f32_e32 v12, 0xbf737871, v3
	v_fmac_f32_e32 v16, 0x3f167918, v13
	v_add_f32_e32 v17, v17, v18
	v_fmac_f32_e32 v12, 0xbf167918, v13
	v_fmac_f32_e32 v16, 0x3e9e377a, v17
	;; [unrolled: 1-line block ×3, first 2 shown]
	v_add_f32_e32 v17, v14, v24
	v_add_f32_e32 v2, v10, v14
	v_fma_f32 v10, -0.5, v17, v10
	v_mov_b32_e32 v18, v10
	v_fmac_f32_e32 v18, 0xbf737871, v13
	v_sub_f32_e32 v17, v20, v14
	v_sub_f32_e32 v19, v22, v24
	v_fmac_f32_e32 v10, 0x3f737871, v13
	v_add_f32_e32 v13, v23, v25
	v_fmac_f32_e32 v18, 0x3f167918, v3
	v_add_f32_e32 v17, v17, v19
	v_fmac_f32_e32 v10, 0xbf167918, v3
	v_fma_f32 v13, -0.5, v13, v11
	v_add_f32_e32 v2, v2, v20
	v_fmac_f32_e32 v18, 0x3e9e377a, v17
	v_fmac_f32_e32 v10, 0x3e9e377a, v17
	v_sub_f32_e32 v14, v14, v24
	v_mov_b32_e32 v17, v13
	v_add_f32_e32 v2, v2, v22
	v_fmac_f32_e32 v17, 0xbf737871, v14
	v_sub_f32_e32 v20, v20, v22
	v_sub_f32_e32 v19, v21, v23
	;; [unrolled: 1-line block ×3, first 2 shown]
	v_fmac_f32_e32 v13, 0x3f737871, v14
	v_fmac_f32_e32 v17, 0xbf167918, v20
	v_add_f32_e32 v19, v19, v22
	v_fmac_f32_e32 v13, 0x3f167918, v20
	v_fmac_f32_e32 v17, 0x3e9e377a, v19
	v_fmac_f32_e32 v13, 0x3e9e377a, v19
	v_add_f32_e32 v19, v21, v27
	v_add_f32_e32 v3, v11, v21
	v_fmac_f32_e32 v11, -0.5, v19
	v_mov_b32_e32 v19, v11
	v_fmac_f32_e32 v19, 0x3f737871, v20
	v_fmac_f32_e32 v11, 0xbf737871, v20
	;; [unrolled: 1-line block ×4, first 2 shown]
	v_add_f32_e32 v14, v8, v60
	v_add_f32_e32 v14, v14, v28
	;; [unrolled: 1-line block ×3, first 2 shown]
	v_mul_f32_e32 v35, v77, v35
	v_sub_f32_e32 v21, v23, v21
	v_sub_f32_e32 v22, v25, v27
	v_add_f32_e32 v20, v14, v32
	v_add_f32_e32 v14, v28, v30
	v_fmac_f32_e32 v35, v78, v34
	v_add_f32_e32 v21, v21, v22
	v_fma_f32 v22, -0.5, v14, v8
	v_add_f32_e32 v2, v2, v24
	v_add_f32_e32 v3, v3, v23
	v_sub_f32_e32 v14, v29, v35
	v_mov_b32_e32 v24, v22
	v_add_f32_e32 v3, v3, v25
	v_fmac_f32_e32 v19, 0x3e9e377a, v21
	v_fmac_f32_e32 v11, 0x3e9e377a, v21
	;; [unrolled: 1-line block ×3, first 2 shown]
	v_sub_f32_e32 v21, v31, v33
	v_sub_f32_e32 v23, v60, v28
	;; [unrolled: 1-line block ×3, first 2 shown]
	v_fmac_f32_e32 v22, 0xbf737871, v14
	v_fmac_f32_e32 v24, 0x3f167918, v21
	v_add_f32_e32 v23, v23, v25
	v_fmac_f32_e32 v22, 0xbf167918, v21
	v_fmac_f32_e32 v24, 0x3e9e377a, v23
	;; [unrolled: 1-line block ×3, first 2 shown]
	v_add_f32_e32 v23, v60, v32
	v_fma_f32 v8, -0.5, v23, v8
	v_mov_b32_e32 v26, v8
	v_fmac_f32_e32 v26, 0xbf737871, v21
	v_fmac_f32_e32 v8, 0x3f737871, v21
	;; [unrolled: 1-line block ×4, first 2 shown]
	v_add_f32_e32 v14, v9, v29
	v_add_f32_e32 v14, v14, v31
	v_sub_f32_e32 v23, v28, v60
	v_sub_f32_e32 v25, v30, v32
	v_add_f32_e32 v14, v14, v33
	v_add_f32_e32 v23, v23, v25
	;; [unrolled: 1-line block ×4, first 2 shown]
	v_fmac_f32_e32 v26, 0x3e9e377a, v23
	v_fmac_f32_e32 v8, 0x3e9e377a, v23
	v_fma_f32 v23, -0.5, v14, v9
	v_sub_f32_e32 v14, v60, v32
	v_mov_b32_e32 v25, v23
	v_add_f32_e32 v3, v3, v27
	v_fmac_f32_e32 v25, 0xbf737871, v14
	v_sub_f32_e32 v28, v28, v30
	v_sub_f32_e32 v27, v29, v31
	;; [unrolled: 1-line block ×3, first 2 shown]
	v_fmac_f32_e32 v23, 0x3f737871, v14
	v_fmac_f32_e32 v25, 0xbf167918, v28
	v_add_f32_e32 v27, v27, v30
	v_fmac_f32_e32 v23, 0x3f167918, v28
	v_fmac_f32_e32 v25, 0x3e9e377a, v27
	;; [unrolled: 1-line block ×3, first 2 shown]
	v_add_f32_e32 v27, v29, v35
	v_fmac_f32_e32 v9, -0.5, v27
	v_mov_b32_e32 v27, v9
	v_fmac_f32_e32 v27, 0x3f737871, v28
	v_fmac_f32_e32 v9, 0xbf737871, v28
	;; [unrolled: 1-line block ×4, first 2 shown]
	v_add_f32_e32 v14, v4, v61
	v_add_f32_e32 v14, v14, v36
	;; [unrolled: 1-line block ×3, first 2 shown]
	v_mul_f32_e32 v43, v91, v43
	v_sub_f32_e32 v29, v31, v29
	v_sub_f32_e32 v30, v33, v35
	v_add_f32_e32 v28, v14, v40
	v_add_f32_e32 v14, v36, v38
	v_fmac_f32_e32 v43, v92, v42
	v_add_f32_e32 v29, v29, v30
	v_fma_f32 v30, -0.5, v14, v4
	v_sub_f32_e32 v14, v37, v43
	v_mov_b32_e32 v32, v30
	v_fmac_f32_e32 v27, 0x3e9e377a, v29
	v_fmac_f32_e32 v9, 0x3e9e377a, v29
	;; [unrolled: 1-line block ×3, first 2 shown]
	v_sub_f32_e32 v29, v39, v41
	v_sub_f32_e32 v31, v61, v36
	;; [unrolled: 1-line block ×3, first 2 shown]
	v_fmac_f32_e32 v30, 0xbf737871, v14
	v_fmac_f32_e32 v32, 0x3f167918, v29
	v_add_f32_e32 v31, v31, v33
	v_fmac_f32_e32 v30, 0xbf167918, v29
	v_fmac_f32_e32 v32, 0x3e9e377a, v31
	;; [unrolled: 1-line block ×3, first 2 shown]
	v_add_f32_e32 v31, v61, v40
	v_fma_f32 v4, -0.5, v31, v4
	v_mov_b32_e32 v34, v4
	v_fmac_f32_e32 v34, 0xbf737871, v29
	v_fmac_f32_e32 v4, 0x3f737871, v29
	;; [unrolled: 1-line block ×4, first 2 shown]
	v_add_f32_e32 v14, v5, v37
	v_add_f32_e32 v14, v14, v39
	v_sub_f32_e32 v31, v36, v61
	v_sub_f32_e32 v33, v38, v40
	v_add_f32_e32 v14, v14, v41
	v_add_f32_e32 v31, v31, v33
	;; [unrolled: 1-line block ×4, first 2 shown]
	v_fmac_f32_e32 v34, 0x3e9e377a, v31
	v_fmac_f32_e32 v4, 0x3e9e377a, v31
	v_fma_f32 v31, -0.5, v14, v5
	v_sub_f32_e32 v14, v61, v40
	v_mov_b32_e32 v33, v31
	v_fmac_f32_e32 v33, 0xbf737871, v14
	v_sub_f32_e32 v36, v36, v38
	v_sub_f32_e32 v35, v37, v39
	;; [unrolled: 1-line block ×3, first 2 shown]
	v_fmac_f32_e32 v31, 0x3f737871, v14
	v_fmac_f32_e32 v33, 0xbf167918, v36
	v_add_f32_e32 v35, v35, v38
	v_fmac_f32_e32 v31, 0x3f167918, v36
	v_fmac_f32_e32 v33, 0x3e9e377a, v35
	;; [unrolled: 1-line block ×3, first 2 shown]
	v_add_f32_e32 v35, v37, v43
	v_fma_f32 v5, -0.5, v35, v5
	v_mov_b32_e32 v35, v5
	v_fmac_f32_e32 v35, 0x3f737871, v36
	v_fmac_f32_e32 v5, 0xbf737871, v36
	;; [unrolled: 1-line block ×4, first 2 shown]
	v_add_f32_e32 v14, v6, v62
	v_add_f32_e32 v14, v14, v44
	;; [unrolled: 1-line block ×3, first 2 shown]
	v_mul_f32_e32 v55, v93, v55
	v_sub_f32_e32 v37, v39, v37
	v_sub_f32_e32 v38, v41, v43
	v_add_f32_e32 v36, v14, v52
	v_add_f32_e32 v14, v44, v46
	v_fmac_f32_e32 v55, v94, v54
	v_add_f32_e32 v37, v37, v38
	v_fma_f32 v38, -0.5, v14, v6
	v_sub_f32_e32 v14, v45, v55
	v_mov_b32_e32 v40, v38
	v_fmac_f32_e32 v35, 0x3e9e377a, v37
	v_fmac_f32_e32 v5, 0x3e9e377a, v37
	;; [unrolled: 1-line block ×3, first 2 shown]
	v_sub_f32_e32 v37, v47, v53
	v_sub_f32_e32 v39, v62, v44
	;; [unrolled: 1-line block ×3, first 2 shown]
	v_fmac_f32_e32 v38, 0xbf737871, v14
	v_fmac_f32_e32 v40, 0x3f167918, v37
	v_add_f32_e32 v39, v39, v41
	v_fmac_f32_e32 v38, 0xbf167918, v37
	v_fmac_f32_e32 v40, 0x3e9e377a, v39
	;; [unrolled: 1-line block ×3, first 2 shown]
	v_add_f32_e32 v39, v62, v52
	v_fma_f32 v6, -0.5, v39, v6
	v_mov_b32_e32 v42, v6
	v_fmac_f32_e32 v42, 0xbf737871, v37
	v_fmac_f32_e32 v6, 0x3f737871, v37
	;; [unrolled: 1-line block ×4, first 2 shown]
	v_add_f32_e32 v14, v7, v45
	v_add_f32_e32 v14, v14, v47
	v_sub_f32_e32 v39, v44, v62
	v_sub_f32_e32 v41, v46, v52
	v_add_f32_e32 v14, v14, v53
	v_add_f32_e32 v39, v39, v41
	;; [unrolled: 1-line block ×4, first 2 shown]
	v_fmac_f32_e32 v42, 0x3e9e377a, v39
	v_fmac_f32_e32 v6, 0x3e9e377a, v39
	v_fma_f32 v39, -0.5, v14, v7
	v_sub_f32_e32 v14, v62, v52
	v_mov_b32_e32 v41, v39
	v_fmac_f32_e32 v41, 0xbf737871, v14
	v_sub_f32_e32 v44, v44, v46
	v_sub_f32_e32 v43, v45, v47
	;; [unrolled: 1-line block ×3, first 2 shown]
	v_fmac_f32_e32 v39, 0x3f737871, v14
	v_fmac_f32_e32 v41, 0xbf167918, v44
	v_add_f32_e32 v43, v43, v46
	v_fmac_f32_e32 v39, 0x3f167918, v44
	v_fmac_f32_e32 v41, 0x3e9e377a, v43
	;; [unrolled: 1-line block ×3, first 2 shown]
	v_add_f32_e32 v43, v45, v55
	v_fmac_f32_e32 v7, -0.5, v43
	v_mov_b32_e32 v43, v7
	v_fmac_f32_e32 v43, 0x3f737871, v44
	v_fmac_f32_e32 v7, 0xbf737871, v44
	;; [unrolled: 1-line block ×4, first 2 shown]
	v_add_f32_e32 v14, v0, v67
	v_add_f32_e32 v14, v14, v69
	;; [unrolled: 1-line block ×3, first 2 shown]
	v_sub_f32_e32 v45, v47, v45
	v_sub_f32_e32 v46, v53, v55
	v_add_f32_e32 v44, v14, v63
	v_add_f32_e32 v14, v69, v71
	;; [unrolled: 1-line block ×3, first 2 shown]
	v_fma_f32 v46, -0.5, v14, v0
	v_sub_f32_e32 v14, v68, v66
	v_mov_b32_e32 v52, v46
	v_fmac_f32_e32 v43, 0x3e9e377a, v45
	v_fmac_f32_e32 v7, 0x3e9e377a, v45
	v_fmac_f32_e32 v52, 0x3f737871, v14
	v_sub_f32_e32 v45, v70, v64
	v_sub_f32_e32 v47, v67, v69
	v_sub_f32_e32 v53, v63, v71
	v_fmac_f32_e32 v46, 0xbf737871, v14
	v_fmac_f32_e32 v52, 0x3f167918, v45
	v_add_f32_e32 v47, v47, v53
	v_fmac_f32_e32 v46, 0xbf167918, v45
	v_fmac_f32_e32 v52, 0x3e9e377a, v47
	;; [unrolled: 1-line block ×3, first 2 shown]
	v_add_f32_e32 v47, v67, v63
	v_fma_f32 v0, -0.5, v47, v0
	v_mov_b32_e32 v54, v0
	v_fmac_f32_e32 v54, 0xbf737871, v45
	v_fmac_f32_e32 v0, 0x3f737871, v45
	;; [unrolled: 1-line block ×4, first 2 shown]
	v_add_f32_e32 v14, v1, v68
	v_add_f32_e32 v14, v14, v70
	v_sub_f32_e32 v47, v69, v67
	v_sub_f32_e32 v53, v71, v63
	v_add_f32_e32 v14, v14, v64
	v_add_f32_e32 v47, v47, v53
	;; [unrolled: 1-line block ×4, first 2 shown]
	v_fmac_f32_e32 v54, 0x3e9e377a, v47
	v_fmac_f32_e32 v0, 0x3e9e377a, v47
	v_fma_f32 v47, -0.5, v14, v1
	v_sub_f32_e32 v14, v67, v63
	v_mov_b32_e32 v53, v47
	v_fmac_f32_e32 v53, 0xbf737871, v14
	v_sub_f32_e32 v60, v69, v71
	v_sub_f32_e32 v55, v68, v70
	;; [unrolled: 1-line block ×3, first 2 shown]
	v_fmac_f32_e32 v47, 0x3f737871, v14
	v_fmac_f32_e32 v53, 0xbf167918, v60
	v_add_f32_e32 v55, v55, v61
	v_fmac_f32_e32 v47, 0x3f167918, v60
	v_fmac_f32_e32 v53, 0x3e9e377a, v55
	;; [unrolled: 1-line block ×3, first 2 shown]
	v_add_f32_e32 v55, v68, v66
	v_fmac_f32_e32 v1, -0.5, v55
	v_mov_b32_e32 v55, v1
	v_fmac_f32_e32 v55, 0x3f737871, v60
	v_sub_f32_e32 v61, v70, v68
	v_sub_f32_e32 v62, v64, v66
	v_fmac_f32_e32 v1, 0xbf737871, v60
	v_fmac_f32_e32 v55, 0xbf167918, v14
	v_add_f32_e32 v61, v61, v62
	v_fmac_f32_e32 v1, 0x3f167918, v14
	v_fmac_f32_e32 v55, 0x3e9e377a, v61
	;; [unrolled: 1-line block ×3, first 2 shown]
	ds_write_b64 v58, v[2:3]
	ds_write_b64 v58, v[16:17] offset:520
	ds_write_b64 v58, v[18:19] offset:1040
	;; [unrolled: 1-line block ×4, first 2 shown]
	ds_write2_b64 v15, v[20:21], v[24:25] offset1:65
	ds_write2_b64 v15, v[26:27], v[8:9] offset0:130 offset1:195
	ds_write_b64 v15, v[22:23] offset:2080
	ds_write2_b64 v58, v[28:29], v[36:37] offset0:26 offset1:39
	ds_write2_b64 v58, v[32:33], v[40:41] offset0:91 offset1:104
	;; [unrolled: 1-line block ×5, first 2 shown]
	ds_write_b64 v58, v[44:45] offset:416
	ds_write_b64 v58, v[52:53] offset:936
	;; [unrolled: 1-line block ×5, first 2 shown]
	s_waitcnt lgkmcnt(0)
	; wave barrier
	s_waitcnt lgkmcnt(0)
	s_and_saveexec_b64 s[0:1], vcc
	s_cbranch_execz .LBB0_17
; %bb.16:
	v_mul_lo_u32 v2, s5, v50
	v_mul_lo_u32 v3, s4, v51
	v_mad_u64_u32 v[6:7], s[0:1], s4, v50, 0
	v_mad_u64_u32 v[4:5], s[0:1], s2, v56, 0
	v_add3_u32 v7, v7, v3, v2
	v_lshlrev_b64 v[6:7], 3, v[6:7]
	v_mov_b32_e32 v8, s11
	v_add_co_u32_e32 v9, vcc, s10, v6
	v_addc_co_u32_e32 v8, vcc, v8, v7, vcc
	v_lshlrev_b64 v[6:7], 3, v[48:49]
	v_mov_b32_e32 v0, v5
	v_add_co_u32_e32 v11, vcc, v9, v6
	v_addc_co_u32_e32 v12, vcc, v8, v7, vcc
	v_add_u32_e32 v8, 13, v56
	v_mad_u64_u32 v[0:1], s[0:1], s3, v56, v[0:1]
	v_mad_u64_u32 v[6:7], s[0:1], s2, v8, 0
	v_lshl_add_u32 v10, v56, 3, v57
	v_mov_b32_e32 v5, v0
	ds_read2_b64 v[0:3], v10 offset1:13
	v_mad_u64_u32 v[7:8], s[0:1], s3, v8, v[7:8]
	v_add_u32_e32 v13, 26, v56
	v_lshlrev_b64 v[4:5], 3, v[4:5]
	v_mad_u64_u32 v[8:9], s[0:1], s2, v13, 0
	v_add_co_u32_e32 v4, vcc, v11, v4
	v_addc_co_u32_e32 v5, vcc, v12, v5, vcc
	s_waitcnt lgkmcnt(0)
	global_store_dwordx2 v[4:5], v[0:1], off
	v_mov_b32_e32 v4, v9
	v_mad_u64_u32 v[4:5], s[0:1], s3, v13, v[4:5]
	v_lshlrev_b64 v[0:1], 3, v[6:7]
	v_add_u32_e32 v13, 52, v56
	v_mov_b32_e32 v9, v4
	v_lshlrev_b64 v[4:5], 3, v[8:9]
	v_add_u32_e32 v8, 39, v56
	v_mad_u64_u32 v[6:7], s[0:1], s2, v8, 0
	v_add_co_u32_e32 v0, vcc, v11, v0
	v_addc_co_u32_e32 v1, vcc, v12, v1, vcc
	global_store_dwordx2 v[0:1], v[2:3], off
	ds_read2_b64 v[0:3], v10 offset0:26 offset1:39
	v_mad_u64_u32 v[7:8], s[0:1], s3, v8, v[7:8]
	v_mad_u64_u32 v[8:9], s[0:1], s2, v13, 0
	v_add_co_u32_e32 v4, vcc, v11, v4
	v_addc_co_u32_e32 v5, vcc, v12, v5, vcc
	s_waitcnt lgkmcnt(0)
	global_store_dwordx2 v[4:5], v[0:1], off
	v_mov_b32_e32 v4, v9
	v_mad_u64_u32 v[4:5], s[0:1], s3, v13, v[4:5]
	v_lshlrev_b64 v[0:1], 3, v[6:7]
	v_add_u32_e32 v13, 0x4e, v56
	v_mov_b32_e32 v9, v4
	v_lshlrev_b64 v[4:5], 3, v[8:9]
	v_add_u32_e32 v8, 0x41, v56
	v_mad_u64_u32 v[6:7], s[0:1], s2, v8, 0
	v_add_co_u32_e32 v0, vcc, v11, v0
	v_addc_co_u32_e32 v1, vcc, v12, v1, vcc
	global_store_dwordx2 v[0:1], v[2:3], off
	ds_read2_b64 v[0:3], v10 offset0:52 offset1:65
	v_mad_u64_u32 v[7:8], s[0:1], s3, v8, v[7:8]
	;; [unrolled: 18-line block ×10, first 2 shown]
	v_add_u32_e32 v14, 0x11e, v56
	v_mad_u64_u32 v[8:9], s[0:1], s2, v14, 0
	v_add_co_u32_e32 v4, vcc, v11, v4
	v_addc_co_u32_e32 v5, vcc, v12, v5, vcc
	s_waitcnt lgkmcnt(0)
	global_store_dwordx2 v[4:5], v[0:1], off
	v_mov_b32_e32 v4, v9
	v_mad_u64_u32 v[4:5], s[0:1], s3, v14, v[4:5]
	v_lshlrev_b64 v[0:1], 3, v[6:7]
	v_mov_b32_e32 v9, v4
	v_lshlrev_b64 v[4:5], 3, v[8:9]
	v_add_u32_e32 v8, 0x12b, v56
	v_mad_u64_u32 v[6:7], s[0:1], s2, v8, 0
	v_add_co_u32_e32 v0, vcc, v11, v0
	v_addc_co_u32_e32 v1, vcc, v12, v1, vcc
	global_store_dwordx2 v[0:1], v[2:3], off
	ds_read2_b64 v[0:3], v13 offset0:30 offset1:43
	v_mad_u64_u32 v[7:8], s[0:1], s3, v8, v[7:8]
	v_add_u32_e32 v13, 0x138, v56
	v_mad_u64_u32 v[8:9], s[0:1], s2, v13, 0
	v_add_co_u32_e32 v4, vcc, v11, v4
	v_addc_co_u32_e32 v5, vcc, v12, v5, vcc
	s_waitcnt lgkmcnt(0)
	global_store_dwordx2 v[4:5], v[0:1], off
	v_mov_b32_e32 v4, v9
	v_lshlrev_b64 v[0:1], 3, v[6:7]
	v_mad_u64_u32 v[4:5], s[0:1], s3, v13, v[4:5]
	v_add_co_u32_e32 v0, vcc, v11, v0
	v_addc_co_u32_e32 v1, vcc, v12, v1, vcc
	global_store_dwordx2 v[0:1], v[2:3], off
	v_mov_b32_e32 v9, v4
	ds_read_b64 v[0:1], v10 offset:2496
	v_lshlrev_b64 v[2:3], 3, v[8:9]
	v_add_co_u32_e32 v2, vcc, v11, v2
	v_addc_co_u32_e32 v3, vcc, v12, v3, vcc
	s_waitcnt lgkmcnt(0)
	global_store_dwordx2 v[2:3], v[0:1], off
.LBB0_17:
	s_endpgm
	.section	.rodata,"a",@progbits
	.p2align	6, 0x0
	.amdhsa_kernel fft_rtc_fwd_len325_factors_13_5_5_wgs_52_tpt_13_sp_op_CI_CI_sbrr_dirReg
		.amdhsa_group_segment_fixed_size 0
		.amdhsa_private_segment_fixed_size 0
		.amdhsa_kernarg_size 104
		.amdhsa_user_sgpr_count 6
		.amdhsa_user_sgpr_private_segment_buffer 1
		.amdhsa_user_sgpr_dispatch_ptr 0
		.amdhsa_user_sgpr_queue_ptr 0
		.amdhsa_user_sgpr_kernarg_segment_ptr 1
		.amdhsa_user_sgpr_dispatch_id 0
		.amdhsa_user_sgpr_flat_scratch_init 0
		.amdhsa_user_sgpr_private_segment_size 0
		.amdhsa_uses_dynamic_stack 0
		.amdhsa_system_sgpr_private_segment_wavefront_offset 0
		.amdhsa_system_sgpr_workgroup_id_x 1
		.amdhsa_system_sgpr_workgroup_id_y 0
		.amdhsa_system_sgpr_workgroup_id_z 0
		.amdhsa_system_sgpr_workgroup_info 0
		.amdhsa_system_vgpr_workitem_id 0
		.amdhsa_next_free_vgpr 122
		.amdhsa_next_free_sgpr 32
		.amdhsa_reserve_vcc 1
		.amdhsa_reserve_flat_scratch 0
		.amdhsa_float_round_mode_32 0
		.amdhsa_float_round_mode_16_64 0
		.amdhsa_float_denorm_mode_32 3
		.amdhsa_float_denorm_mode_16_64 3
		.amdhsa_dx10_clamp 1
		.amdhsa_ieee_mode 1
		.amdhsa_fp16_overflow 0
		.amdhsa_exception_fp_ieee_invalid_op 0
		.amdhsa_exception_fp_denorm_src 0
		.amdhsa_exception_fp_ieee_div_zero 0
		.amdhsa_exception_fp_ieee_overflow 0
		.amdhsa_exception_fp_ieee_underflow 0
		.amdhsa_exception_fp_ieee_inexact 0
		.amdhsa_exception_int_div_zero 0
	.end_amdhsa_kernel
	.text
.Lfunc_end0:
	.size	fft_rtc_fwd_len325_factors_13_5_5_wgs_52_tpt_13_sp_op_CI_CI_sbrr_dirReg, .Lfunc_end0-fft_rtc_fwd_len325_factors_13_5_5_wgs_52_tpt_13_sp_op_CI_CI_sbrr_dirReg
                                        ; -- End function
	.section	.AMDGPU.csdata,"",@progbits
; Kernel info:
; codeLenInByte = 15556
; NumSgprs: 36
; NumVgprs: 122
; ScratchSize: 0
; MemoryBound: 0
; FloatMode: 240
; IeeeMode: 1
; LDSByteSize: 0 bytes/workgroup (compile time only)
; SGPRBlocks: 4
; VGPRBlocks: 30
; NumSGPRsForWavesPerEU: 36
; NumVGPRsForWavesPerEU: 122
; Occupancy: 2
; WaveLimiterHint : 1
; COMPUTE_PGM_RSRC2:SCRATCH_EN: 0
; COMPUTE_PGM_RSRC2:USER_SGPR: 6
; COMPUTE_PGM_RSRC2:TRAP_HANDLER: 0
; COMPUTE_PGM_RSRC2:TGID_X_EN: 1
; COMPUTE_PGM_RSRC2:TGID_Y_EN: 0
; COMPUTE_PGM_RSRC2:TGID_Z_EN: 0
; COMPUTE_PGM_RSRC2:TIDIG_COMP_CNT: 0
	.type	__hip_cuid_a9227416d059ffbe,@object ; @__hip_cuid_a9227416d059ffbe
	.section	.bss,"aw",@nobits
	.globl	__hip_cuid_a9227416d059ffbe
__hip_cuid_a9227416d059ffbe:
	.byte	0                               ; 0x0
	.size	__hip_cuid_a9227416d059ffbe, 1

	.ident	"AMD clang version 19.0.0git (https://github.com/RadeonOpenCompute/llvm-project roc-6.4.0 25133 c7fe45cf4b819c5991fe208aaa96edf142730f1d)"
	.section	".note.GNU-stack","",@progbits
	.addrsig
	.addrsig_sym __hip_cuid_a9227416d059ffbe
	.amdgpu_metadata
---
amdhsa.kernels:
  - .args:
      - .actual_access:  read_only
        .address_space:  global
        .offset:         0
        .size:           8
        .value_kind:     global_buffer
      - .offset:         8
        .size:           8
        .value_kind:     by_value
      - .actual_access:  read_only
        .address_space:  global
        .offset:         16
        .size:           8
        .value_kind:     global_buffer
      - .actual_access:  read_only
        .address_space:  global
        .offset:         24
        .size:           8
        .value_kind:     global_buffer
      - .actual_access:  read_only
        .address_space:  global
        .offset:         32
        .size:           8
        .value_kind:     global_buffer
      - .offset:         40
        .size:           8
        .value_kind:     by_value
      - .actual_access:  read_only
        .address_space:  global
        .offset:         48
        .size:           8
        .value_kind:     global_buffer
      - .actual_access:  read_only
        .address_space:  global
        .offset:         56
        .size:           8
        .value_kind:     global_buffer
      - .offset:         64
        .size:           4
        .value_kind:     by_value
      - .actual_access:  read_only
        .address_space:  global
        .offset:         72
        .size:           8
        .value_kind:     global_buffer
      - .actual_access:  read_only
        .address_space:  global
        .offset:         80
        .size:           8
        .value_kind:     global_buffer
      - .actual_access:  read_only
        .address_space:  global
        .offset:         88
        .size:           8
        .value_kind:     global_buffer
      - .actual_access:  write_only
        .address_space:  global
        .offset:         96
        .size:           8
        .value_kind:     global_buffer
    .group_segment_fixed_size: 0
    .kernarg_segment_align: 8
    .kernarg_segment_size: 104
    .language:       OpenCL C
    .language_version:
      - 2
      - 0
    .max_flat_workgroup_size: 52
    .name:           fft_rtc_fwd_len325_factors_13_5_5_wgs_52_tpt_13_sp_op_CI_CI_sbrr_dirReg
    .private_segment_fixed_size: 0
    .sgpr_count:     36
    .sgpr_spill_count: 0
    .symbol:         fft_rtc_fwd_len325_factors_13_5_5_wgs_52_tpt_13_sp_op_CI_CI_sbrr_dirReg.kd
    .uniform_work_group_size: 1
    .uses_dynamic_stack: false
    .vgpr_count:     122
    .vgpr_spill_count: 0
    .wavefront_size: 64
amdhsa.target:   amdgcn-amd-amdhsa--gfx906
amdhsa.version:
  - 1
  - 2
...

	.end_amdgpu_metadata
